;; amdgpu-corpus repo=ROCm/rocFFT kind=compiled arch=gfx906 opt=O3
	.text
	.amdgcn_target "amdgcn-amd-amdhsa--gfx906"
	.amdhsa_code_object_version 6
	.protected	fft_rtc_back_len1122_factors_17_11_6_wgs_204_tpt_102_halfLds_dp_op_CI_CI_sbrr_dirReg ; -- Begin function fft_rtc_back_len1122_factors_17_11_6_wgs_204_tpt_102_halfLds_dp_op_CI_CI_sbrr_dirReg
	.globl	fft_rtc_back_len1122_factors_17_11_6_wgs_204_tpt_102_halfLds_dp_op_CI_CI_sbrr_dirReg
	.p2align	8
	.type	fft_rtc_back_len1122_factors_17_11_6_wgs_204_tpt_102_halfLds_dp_op_CI_CI_sbrr_dirReg,@function
fft_rtc_back_len1122_factors_17_11_6_wgs_204_tpt_102_halfLds_dp_op_CI_CI_sbrr_dirReg: ; @fft_rtc_back_len1122_factors_17_11_6_wgs_204_tpt_102_halfLds_dp_op_CI_CI_sbrr_dirReg
; %bb.0:
	s_load_dwordx4 s[16:19], s[4:5], 0x18
	s_load_dwordx4 s[8:11], s[4:5], 0x0
	;; [unrolled: 1-line block ×3, first 2 shown]
	v_mul_u32_u24_e32 v1, 0x283, v0
	v_lshrrev_b32_e32 v123, 16, v1
	s_waitcnt lgkmcnt(0)
	s_load_dwordx2 s[22:23], s[16:17], 0x0
	s_load_dwordx2 s[20:21], s[18:19], 0x0
	v_cmp_lt_u64_e64 s[0:1], s[10:11], 2
	v_mov_b32_e32 v3, 0
	v_mov_b32_e32 v1, 0
	v_lshl_add_u32 v5, s6, 1, v123
	v_mov_b32_e32 v6, v3
	s_and_b64 vcc, exec, s[0:1]
	v_mov_b32_e32 v2, 0
	s_cbranch_vccnz .LBB0_8
; %bb.1:
	s_load_dwordx2 s[0:1], s[4:5], 0x10
	s_add_u32 s2, s18, 8
	s_addc_u32 s3, s19, 0
	s_add_u32 s6, s16, 8
	v_mov_b32_e32 v1, 0
	s_addc_u32 s7, s17, 0
	v_mov_b32_e32 v2, 0
	s_waitcnt lgkmcnt(0)
	s_add_u32 s24, s0, 8
	v_mov_b32_e32 v95, v2
	s_addc_u32 s25, s1, 0
	s_mov_b64 s[26:27], 1
	v_mov_b32_e32 v94, v1
.LBB0_2:                                ; =>This Inner Loop Header: Depth=1
	s_load_dwordx2 s[28:29], s[24:25], 0x0
                                        ; implicit-def: $vgpr96_vgpr97
	s_waitcnt lgkmcnt(0)
	v_or_b32_e32 v4, s29, v6
	v_cmp_ne_u64_e32 vcc, 0, v[3:4]
	s_and_saveexec_b64 s[0:1], vcc
	s_xor_b64 s[30:31], exec, s[0:1]
	s_cbranch_execz .LBB0_4
; %bb.3:                                ;   in Loop: Header=BB0_2 Depth=1
	v_cvt_f32_u32_e32 v4, s28
	v_cvt_f32_u32_e32 v7, s29
	s_sub_u32 s0, 0, s28
	s_subb_u32 s1, 0, s29
	v_mac_f32_e32 v4, 0x4f800000, v7
	v_rcp_f32_e32 v4, v4
	v_mul_f32_e32 v4, 0x5f7ffffc, v4
	v_mul_f32_e32 v7, 0x2f800000, v4
	v_trunc_f32_e32 v7, v7
	v_mac_f32_e32 v4, 0xcf800000, v7
	v_cvt_u32_f32_e32 v7, v7
	v_cvt_u32_f32_e32 v4, v4
	v_mul_lo_u32 v8, s0, v7
	v_mul_hi_u32 v9, s0, v4
	v_mul_lo_u32 v11, s1, v4
	v_mul_lo_u32 v10, s0, v4
	v_add_u32_e32 v8, v9, v8
	v_add_u32_e32 v8, v8, v11
	v_mul_hi_u32 v9, v4, v10
	v_mul_lo_u32 v11, v4, v8
	v_mul_hi_u32 v13, v4, v8
	v_mul_hi_u32 v12, v7, v10
	v_mul_lo_u32 v10, v7, v10
	v_mul_hi_u32 v14, v7, v8
	v_add_co_u32_e32 v9, vcc, v9, v11
	v_addc_co_u32_e32 v11, vcc, 0, v13, vcc
	v_mul_lo_u32 v8, v7, v8
	v_add_co_u32_e32 v9, vcc, v9, v10
	v_addc_co_u32_e32 v9, vcc, v11, v12, vcc
	v_addc_co_u32_e32 v10, vcc, 0, v14, vcc
	v_add_co_u32_e32 v8, vcc, v9, v8
	v_addc_co_u32_e32 v9, vcc, 0, v10, vcc
	v_add_co_u32_e32 v4, vcc, v4, v8
	v_addc_co_u32_e32 v7, vcc, v7, v9, vcc
	v_mul_lo_u32 v8, s0, v7
	v_mul_hi_u32 v9, s0, v4
	v_mul_lo_u32 v10, s1, v4
	v_mul_lo_u32 v11, s0, v4
	v_add_u32_e32 v8, v9, v8
	v_add_u32_e32 v8, v8, v10
	v_mul_lo_u32 v12, v4, v8
	v_mul_hi_u32 v13, v4, v11
	v_mul_hi_u32 v14, v4, v8
	;; [unrolled: 1-line block ×3, first 2 shown]
	v_mul_lo_u32 v11, v7, v11
	v_mul_hi_u32 v9, v7, v8
	v_add_co_u32_e32 v12, vcc, v13, v12
	v_addc_co_u32_e32 v13, vcc, 0, v14, vcc
	v_mul_lo_u32 v8, v7, v8
	v_add_co_u32_e32 v11, vcc, v12, v11
	v_addc_co_u32_e32 v10, vcc, v13, v10, vcc
	v_addc_co_u32_e32 v9, vcc, 0, v9, vcc
	v_add_co_u32_e32 v8, vcc, v10, v8
	v_addc_co_u32_e32 v9, vcc, 0, v9, vcc
	v_add_co_u32_e32 v4, vcc, v4, v8
	v_addc_co_u32_e32 v9, vcc, v7, v9, vcc
	v_mad_u64_u32 v[7:8], s[0:1], v5, v9, 0
	v_mul_hi_u32 v10, v5, v4
	v_add_co_u32_e32 v11, vcc, v10, v7
	v_addc_co_u32_e32 v12, vcc, 0, v8, vcc
	v_mad_u64_u32 v[7:8], s[0:1], v6, v4, 0
	v_mad_u64_u32 v[9:10], s[0:1], v6, v9, 0
	v_add_co_u32_e32 v4, vcc, v11, v7
	v_addc_co_u32_e32 v4, vcc, v12, v8, vcc
	v_addc_co_u32_e32 v7, vcc, 0, v10, vcc
	v_add_co_u32_e32 v4, vcc, v4, v9
	v_addc_co_u32_e32 v9, vcc, 0, v7, vcc
	v_mul_lo_u32 v10, s29, v4
	v_mul_lo_u32 v11, s28, v9
	v_mad_u64_u32 v[7:8], s[0:1], s28, v4, 0
	v_add3_u32 v8, v8, v11, v10
	v_sub_u32_e32 v10, v6, v8
	v_mov_b32_e32 v11, s29
	v_sub_co_u32_e32 v7, vcc, v5, v7
	v_subb_co_u32_e64 v10, s[0:1], v10, v11, vcc
	v_subrev_co_u32_e64 v11, s[0:1], s28, v7
	v_subbrev_co_u32_e64 v10, s[0:1], 0, v10, s[0:1]
	v_cmp_le_u32_e64 s[0:1], s29, v10
	v_cndmask_b32_e64 v12, 0, -1, s[0:1]
	v_cmp_le_u32_e64 s[0:1], s28, v11
	v_cndmask_b32_e64 v11, 0, -1, s[0:1]
	v_cmp_eq_u32_e64 s[0:1], s29, v10
	v_cndmask_b32_e64 v10, v12, v11, s[0:1]
	v_add_co_u32_e64 v11, s[0:1], 2, v4
	v_addc_co_u32_e64 v12, s[0:1], 0, v9, s[0:1]
	v_add_co_u32_e64 v13, s[0:1], 1, v4
	v_addc_co_u32_e64 v14, s[0:1], 0, v9, s[0:1]
	v_subb_co_u32_e32 v8, vcc, v6, v8, vcc
	v_cmp_ne_u32_e64 s[0:1], 0, v10
	v_cmp_le_u32_e32 vcc, s29, v8
	v_cndmask_b32_e64 v10, v14, v12, s[0:1]
	v_cndmask_b32_e64 v12, 0, -1, vcc
	v_cmp_le_u32_e32 vcc, s28, v7
	v_cndmask_b32_e64 v7, 0, -1, vcc
	v_cmp_eq_u32_e32 vcc, s29, v8
	v_cndmask_b32_e32 v7, v12, v7, vcc
	v_cmp_ne_u32_e32 vcc, 0, v7
	v_cndmask_b32_e64 v7, v13, v11, s[0:1]
	v_cndmask_b32_e32 v97, v9, v10, vcc
	v_cndmask_b32_e32 v96, v4, v7, vcc
.LBB0_4:                                ;   in Loop: Header=BB0_2 Depth=1
	s_andn2_saveexec_b64 s[0:1], s[30:31]
	s_cbranch_execz .LBB0_6
; %bb.5:                                ;   in Loop: Header=BB0_2 Depth=1
	v_cvt_f32_u32_e32 v4, s28
	s_sub_i32 s30, 0, s28
	v_mov_b32_e32 v97, v3
	v_rcp_iflag_f32_e32 v4, v4
	v_mul_f32_e32 v4, 0x4f7ffffe, v4
	v_cvt_u32_f32_e32 v4, v4
	v_mul_lo_u32 v7, s30, v4
	v_mul_hi_u32 v7, v4, v7
	v_add_u32_e32 v4, v4, v7
	v_mul_hi_u32 v4, v5, v4
	v_mul_lo_u32 v7, v4, s28
	v_add_u32_e32 v8, 1, v4
	v_sub_u32_e32 v7, v5, v7
	v_subrev_u32_e32 v9, s28, v7
	v_cmp_le_u32_e32 vcc, s28, v7
	v_cndmask_b32_e32 v7, v7, v9, vcc
	v_cndmask_b32_e32 v4, v4, v8, vcc
	v_add_u32_e32 v8, 1, v4
	v_cmp_le_u32_e32 vcc, s28, v7
	v_cndmask_b32_e32 v96, v4, v8, vcc
.LBB0_6:                                ;   in Loop: Header=BB0_2 Depth=1
	s_or_b64 exec, exec, s[0:1]
	v_mul_lo_u32 v4, v97, s28
	v_mul_lo_u32 v9, v96, s29
	v_mad_u64_u32 v[7:8], s[0:1], v96, s28, 0
	s_load_dwordx2 s[0:1], s[6:7], 0x0
	s_load_dwordx2 s[28:29], s[2:3], 0x0
	v_add3_u32 v4, v8, v9, v4
	v_sub_co_u32_e32 v5, vcc, v5, v7
	v_subb_co_u32_e32 v4, vcc, v6, v4, vcc
	s_waitcnt lgkmcnt(0)
	v_mul_lo_u32 v6, s0, v4
	v_mul_lo_u32 v7, s1, v5
	v_mad_u64_u32 v[1:2], s[0:1], s0, v5, v[1:2]
	v_mul_lo_u32 v4, s28, v4
	v_mul_lo_u32 v8, s29, v5
	v_mad_u64_u32 v[94:95], s[0:1], s28, v5, v[94:95]
	s_add_u32 s26, s26, 1
	s_addc_u32 s27, s27, 0
	s_add_u32 s2, s2, 8
	v_add3_u32 v95, v8, v95, v4
	s_addc_u32 s3, s3, 0
	v_mov_b32_e32 v4, s10
	s_add_u32 s6, s6, 8
	v_mov_b32_e32 v5, s11
	s_addc_u32 s7, s7, 0
	v_cmp_ge_u64_e32 vcc, s[26:27], v[4:5]
	s_add_u32 s24, s24, 8
	v_add3_u32 v2, v7, v2, v6
	s_addc_u32 s25, s25, 0
	s_cbranch_vccnz .LBB0_9
; %bb.7:                                ;   in Loop: Header=BB0_2 Depth=1
	v_mov_b32_e32 v5, v96
	v_mov_b32_e32 v6, v97
	s_branch .LBB0_2
.LBB0_8:
	v_mov_b32_e32 v95, v2
	v_mov_b32_e32 v97, v6
	;; [unrolled: 1-line block ×4, first 2 shown]
.LBB0_9:
	s_load_dwordx2 s[0:1], s[4:5], 0x28
	s_mov_b32 s4, 0x2828283
	v_mul_hi_u32 v3, v0, s4
	s_lshl_b64 s[2:3], s[10:11], 3
	s_add_u32 s4, s18, s2
	s_waitcnt lgkmcnt(0)
	v_cmp_gt_u64_e32 vcc, s[0:1], v[96:97]
	v_mul_u32_u24_e32 v3, 0x66, v3
	v_sub_u32_e32 v122, v0, v3
	s_movk_i32 s0, 0x42
	v_cmp_gt_u32_e64 s[0:1], s0, v122
	s_addc_u32 s5, s19, s3
	s_and_b64 s[10:11], vcc, s[0:1]
                                        ; implicit-def: $vgpr8_vgpr9
                                        ; implicit-def: $vgpr12_vgpr13
                                        ; implicit-def: $vgpr16_vgpr17
                                        ; implicit-def: $vgpr24_vgpr25
                                        ; implicit-def: $vgpr28_vgpr29
                                        ; implicit-def: $vgpr32_vgpr33
                                        ; implicit-def: $vgpr36_vgpr37
                                        ; implicit-def: $vgpr40_vgpr41
                                        ; implicit-def: $vgpr44_vgpr45
                                        ; implicit-def: $vgpr48_vgpr49
                                        ; implicit-def: $vgpr52_vgpr53
                                        ; implicit-def: $vgpr56_vgpr57
                                        ; implicit-def: $vgpr60_vgpr61
                                        ; implicit-def: $vgpr64_vgpr65
                                        ; implicit-def: $vgpr72_vgpr73
                                        ; implicit-def: $vgpr68_vgpr69
                                        ; implicit-def: $vgpr20_vgpr21
	s_and_saveexec_b64 s[6:7], s[10:11]
	s_cbranch_execz .LBB0_11
; %bb.10:
	s_add_u32 s2, s16, s2
	s_addc_u32 s3, s17, s3
	s_load_dwordx2 s[2:3], s[2:3], 0x0
	v_mad_u64_u32 v[3:4], s[10:11], s22, v122, 0
	v_add_u32_e32 v12, 0x108, v122
	v_add_u32_e32 v16, 0x18c, v122
	s_waitcnt lgkmcnt(0)
	v_mul_lo_u32 v9, s3, v96
	v_mul_lo_u32 v10, s2, v97
	v_mad_u64_u32 v[5:6], s[2:3], s2, v96, 0
	v_mov_b32_e32 v0, v4
	v_mad_u64_u32 v[7:8], s[2:3], s23, v122, v[0:1]
	v_add3_u32 v6, v6, v10, v9
	v_lshlrev_b64 v[5:6], 4, v[5:6]
	v_mov_b32_e32 v4, v7
	v_mov_b32_e32 v0, s13
	v_add_co_u32_e64 v7, s[2:3], s12, v5
	v_add_u32_e32 v9, 0x42, v122
	v_addc_co_u32_e64 v8, s[2:3], v0, v6, s[2:3]
	v_mad_u64_u32 v[5:6], s[2:3], s22, v9, 0
	v_lshlrev_b64 v[0:1], 4, v[1:2]
	v_add_u32_e32 v10, 0xc6, v122
	v_add_co_u32_e64 v14, s[2:3], v7, v0
	v_mov_b32_e32 v2, v6
	v_addc_co_u32_e64 v15, s[2:3], v8, v1, s[2:3]
	v_lshlrev_b64 v[0:1], 4, v[3:4]
	v_mad_u64_u32 v[2:3], s[2:3], s23, v9, v[2:3]
	v_add_u32_e32 v7, 0x84, v122
	v_mad_u64_u32 v[3:4], s[2:3], s22, v7, 0
	v_add_co_u32_e64 v0, s[2:3], v14, v0
	v_mov_b32_e32 v6, v2
	v_mov_b32_e32 v2, v4
	v_addc_co_u32_e64 v1, s[2:3], v15, v1, s[2:3]
	v_mad_u64_u32 v[7:8], s[2:3], s23, v7, v[2:3]
	v_mad_u64_u32 v[8:9], s[2:3], s22, v10, 0
	v_lshlrev_b64 v[5:6], 4, v[5:6]
	v_mov_b32_e32 v4, v7
	v_add_co_u32_e64 v5, s[2:3], v14, v5
	v_lshlrev_b64 v[2:3], 4, v[3:4]
	v_mov_b32_e32 v4, v9
	v_addc_co_u32_e64 v6, s[2:3], v15, v6, s[2:3]
	v_mad_u64_u32 v[9:10], s[2:3], s23, v10, v[4:5]
	v_mad_u64_u32 v[10:11], s[2:3], s22, v12, 0
	v_add_co_u32_e64 v2, s[2:3], v14, v2
	v_mov_b32_e32 v4, v11
	v_addc_co_u32_e64 v3, s[2:3], v15, v3, s[2:3]
	v_lshlrev_b64 v[7:8], 4, v[8:9]
	v_mad_u64_u32 v[11:12], s[2:3], s23, v12, v[4:5]
	v_add_u32_e32 v9, 0x14a, v122
	v_mad_u64_u32 v[12:13], s[2:3], s22, v9, 0
	v_add_co_u32_e64 v74, s[2:3], v14, v7
	v_mov_b32_e32 v4, v13
	v_addc_co_u32_e64 v75, s[2:3], v15, v8, s[2:3]
	v_lshlrev_b64 v[7:8], 4, v[10:11]
	v_mad_u64_u32 v[9:10], s[2:3], s23, v9, v[4:5]
	v_mad_u64_u32 v[10:11], s[2:3], s22, v16, 0
	v_add_co_u32_e64 v76, s[2:3], v14, v7
	v_mov_b32_e32 v13, v9
	v_mov_b32_e32 v4, v11
	v_addc_co_u32_e64 v77, s[2:3], v15, v8, s[2:3]
	v_lshlrev_b64 v[7:8], 4, v[12:13]
	v_mad_u64_u32 v[11:12], s[2:3], s23, v16, v[4:5]
	v_add_u32_e32 v9, 0x1ce, v122
	v_mad_u64_u32 v[12:13], s[2:3], s22, v9, 0
	v_add_co_u32_e64 v78, s[2:3], v14, v7
	v_mov_b32_e32 v4, v13
	v_addc_co_u32_e64 v79, s[2:3], v15, v8, s[2:3]
	v_lshlrev_b64 v[7:8], 4, v[10:11]
	v_mad_u64_u32 v[9:10], s[2:3], s23, v9, v[4:5]
	v_add_u32_e32 v16, 0x210, v122
	v_mad_u64_u32 v[10:11], s[2:3], s22, v16, 0
	v_add_co_u32_e64 v80, s[2:3], v14, v7
	v_mov_b32_e32 v13, v9
	v_mov_b32_e32 v4, v11
	v_addc_co_u32_e64 v81, s[2:3], v15, v8, s[2:3]
	v_lshlrev_b64 v[7:8], 4, v[12:13]
	v_mad_u64_u32 v[11:12], s[2:3], s23, v16, v[4:5]
	v_add_u32_e32 v9, 0x252, v122
	v_mad_u64_u32 v[12:13], s[2:3], s22, v9, 0
	v_add_co_u32_e64 v82, s[2:3], v14, v7
	v_mov_b32_e32 v4, v13
	v_addc_co_u32_e64 v83, s[2:3], v15, v8, s[2:3]
	v_lshlrev_b64 v[7:8], 4, v[10:11]
	v_mad_u64_u32 v[9:10], s[2:3], s23, v9, v[4:5]
	v_add_u32_e32 v16, 0x294, v122
	;; [unrolled: 15-line block ×5, first 2 shown]
	v_mad_u64_u32 v[10:11], s[2:3], s22, v16, 0
	v_add_co_u32_e64 v100, s[2:3], v14, v7
	v_mov_b32_e32 v13, v9
	v_mov_b32_e32 v4, v11
	v_addc_co_u32_e64 v101, s[2:3], v15, v8, s[2:3]
	v_lshlrev_b64 v[7:8], 4, v[12:13]
	v_mad_u64_u32 v[11:12], s[2:3], s23, v16, v[4:5]
	v_add_co_u32_e64 v102, s[2:3], v14, v7
	global_load_dwordx4 v[18:21], v[0:1], off
	global_load_dwordx4 v[66:69], v[5:6], off
	v_lshlrev_b64 v[0:1], 4, v[10:11]
	v_addc_co_u32_e64 v103, s[2:3], v15, v8, s[2:3]
	v_add_co_u32_e64 v0, s[2:3], v14, v0
	v_addc_co_u32_e64 v1, s[2:3], v15, v1, s[2:3]
	global_load_dwordx4 v[70:73], v[2:3], off
	global_load_dwordx4 v[62:65], v[74:75], off
	;; [unrolled: 1-line block ×15, first 2 shown]
.LBB0_11:
	s_or_b64 exec, exec, s[6:7]
	s_waitcnt vmcnt(0)
	v_add_f64 v[0:1], v[68:69], -v[8:9]
	s_mov_b32 s18, 0x6c9a05f6
	s_mov_b32 s19, 0xbfe9895b
	v_add_f64 v[74:75], v[6:7], v[66:67]
	v_add_f64 v[4:5], v[72:73], -v[12:13]
	s_mov_b32 s6, 0x6ed5f1bb
	s_mov_b32 s22, 0x923c349f
	;; [unrolled: 1-line block ×3, first 2 shown]
	v_mul_f64 v[106:107], v[0:1], s[18:19]
	s_mov_b32 s23, 0x3feec746
	v_add_f64 v[78:79], v[10:11], v[70:71]
	v_add_f64 v[76:77], v[64:65], -v[16:17]
	v_mul_f64 v[108:109], v[4:5], s[22:23]
	s_mov_b32 s10, 0xc61f0d01
	s_mov_b32 s28, 0x5d8e7cdc
	;; [unrolled: 1-line block ×3, first 2 shown]
	v_fma_f64 v[2:3], v[74:75], s[6:7], -v[106:107]
	s_mov_b32 s29, 0xbfd71e95
	v_add_f64 v[82:83], v[14:15], v[62:63]
	v_add_f64 v[80:81], v[60:61], -v[24:25]
	v_mul_f64 v[118:119], v[76:77], s[28:29]
	v_fma_f64 v[88:89], v[78:79], s[10:11], -v[108:109]
	s_mov_b32 s12, 0x370991
	s_mov_b32 s30, 0x4363dd80
	v_add_f64 v[2:3], v[18:19], v[2:3]
	s_mov_b32 s13, 0x3fedd6d0
	s_mov_b32 s31, 0xbfe0d888
	v_add_f64 v[86:87], v[22:23], v[58:59]
	v_add_f64 v[84:85], v[56:57], -v[28:29]
	v_mul_f64 v[110:111], v[80:81], s[30:31]
	v_fma_f64 v[90:91], v[82:83], s[12:13], -v[118:119]
	s_mov_b32 s16, 0x910ea3b9
	v_add_f64 v[2:3], v[88:89], v[2:3]
	s_mov_b32 s36, 0xeb564b22
	s_mov_b32 s17, 0xbfeb34fa
	;; [unrolled: 1-line block ×3, first 2 shown]
	v_add_f64 v[88:89], v[52:53], -v[32:33]
	v_add_f64 v[98:99], v[26:27], v[54:55]
	v_mul_f64 v[114:115], v[84:85], s[36:37]
	v_fma_f64 v[100:101], v[86:87], s[16:17], -v[110:111]
	v_add_f64 v[2:3], v[90:91], v[2:3]
	s_mov_b32 s40, 0x2a9d6da3
	s_mov_b32 s24, 0x3259b75e
	;; [unrolled: 1-line block ×4, first 2 shown]
	v_add_f64 v[92:93], v[30:31], v[50:51]
	v_mul_f64 v[116:117], v[88:89], s[40:41]
	v_add_f64 v[90:91], v[48:49], -v[36:37]
	v_add_f64 v[2:3], v[100:101], v[2:3]
	v_fma_f64 v[100:101], v[98:99], s[24:25], -v[114:115]
	s_mov_b32 s26, 0x75d4884
	s_mov_b32 s42, 0xacd6c6b4
	;; [unrolled: 1-line block ×4, first 2 shown]
	v_fma_f64 v[104:105], v[92:93], s[26:27], -v[116:117]
	v_add_f64 v[102:103], v[34:35], v[46:47]
	v_mul_f64 v[120:121], v[90:91], s[42:43]
	v_add_f64 v[2:3], v[100:101], v[2:3]
	v_add_f64 v[100:101], v[44:45], -v[40:41]
	s_mov_b32 s34, 0x7faef3
	s_mov_b32 s44, 0x7c9e640b
	;; [unrolled: 1-line block ×5, first 2 shown]
	v_fma_f64 v[124:125], v[102:103], s[34:35], -v[120:121]
	v_add_f64 v[2:3], v[104:105], v[2:3]
	v_add_f64 v[104:105], v[38:39], v[42:43]
	v_mul_f64 v[112:113], v[100:101], s[44:45]
	s_mov_b32 s39, 0x3fdc86fa
	v_and_b32_e32 v123, 1, v123
	v_cmp_eq_u32_e64 s[2:3], 1, v123
	v_add_f64 v[2:3], v[124:125], v[2:3]
	v_fma_f64 v[124:125], v[104:105], s[38:39], -v[112:113]
	v_add_f64 v[2:3], v[124:125], v[2:3]
	v_mov_b32_e32 v124, 0x462
	v_cndmask_b32_e64 v123, 0, v124, s[2:3]
	v_lshlrev_b32_e32 v123, 3, v123
	s_and_saveexec_b64 s[2:3], s[0:1]
	s_cbranch_execz .LBB0_13
; %bb.12:
	v_mul_f64 v[124:125], v[74:75], s[34:35]
	s_mov_b32 s47, 0x3fc7851a
	s_mov_b32 s46, s42
	v_mul_f64 v[126:127], v[78:79], s[12:13]
	s_mov_b32 s49, 0x3fd71e95
	s_mov_b32 s48, s28
	v_mul_f64 v[134:135], v[82:83], s[16:17]
	s_mov_b32 s51, 0x3fe0d888
	v_fma_f64 v[128:129], v[0:1], s[46:47], v[124:125]
	v_fma_f64 v[124:125], v[0:1], s[42:43], v[124:125]
	s_mov_b32 s50, s30
	v_fma_f64 v[136:137], v[4:5], s[28:29], v[126:127]
	v_fma_f64 v[126:127], v[4:5], s[48:49], v[126:127]
	v_mul_f64 v[130:131], v[74:75], s[16:17]
	v_mul_f64 v[140:141], v[86:87], s[26:27]
	v_fma_f64 v[142:143], v[76:77], s[50:51], v[134:135]
	v_add_f64 v[128:129], v[18:19], v[128:129]
	v_add_f64 v[124:125], v[18:19], v[124:125]
	v_fma_f64 v[134:135], v[76:77], s[30:31], v[134:135]
	s_mov_b32 s55, 0x3fe58eea
	s_mov_b32 s54, s40
	v_mul_f64 v[132:133], v[78:79], s[38:39]
	v_mul_f64 v[144:145], v[98:99], s[6:7]
	v_fma_f64 v[146:147], v[0:1], s[50:51], v[130:131]
	v_add_f64 v[128:129], v[136:137], v[128:129]
	v_add_f64 v[124:125], v[126:127], v[124:125]
	v_fma_f64 v[148:149], v[80:81], s[40:41], v[140:141]
	v_fma_f64 v[140:141], v[80:81], s[54:55], v[140:141]
	s_mov_b32 s53, 0xbfeca52d
	s_mov_b32 s52, s44
	;; [unrolled: 1-line block ×4, first 2 shown]
	v_add_f64 v[126:127], v[142:143], v[128:129]
	v_add_f64 v[124:125], v[134:135], v[124:125]
	v_mul_f64 v[138:139], v[82:83], s[24:25]
	v_mul_f64 v[128:129], v[92:93], s[38:39]
	v_fma_f64 v[142:143], v[4:5], s[52:53], v[132:133]
	v_fma_f64 v[150:151], v[84:85], s[56:57], v[144:145]
	v_add_f64 v[146:147], v[18:19], v[146:147]
	v_fma_f64 v[144:145], v[84:85], s[18:19], v[144:145]
	v_add_f64 v[126:127], v[148:149], v[126:127]
	v_add_f64 v[124:125], v[140:141], v[124:125]
	v_mul_f64 v[136:137], v[86:87], s[6:7]
	v_mul_f64 v[148:149], v[102:103], s[10:11]
	v_fma_f64 v[152:153], v[76:77], s[36:37], v[138:139]
	v_fma_f64 v[154:155], v[88:89], s[52:53], v[128:129]
	v_add_f64 v[142:143], v[142:143], v[146:147]
	v_fma_f64 v[128:129], v[88:89], s[44:45], v[128:129]
	v_add_f64 v[126:127], v[150:151], v[126:127]
	v_add_f64 v[124:125], v[144:145], v[124:125]
	v_fma_f64 v[130:131], v[0:1], s[30:31], v[130:131]
	s_mov_b32 s59, 0xbfeec746
	s_mov_b32 s58, s22
	v_mul_f64 v[134:135], v[98:99], s[12:13]
	v_fma_f64 v[140:141], v[80:81], s[18:19], v[136:137]
	v_fma_f64 v[146:147], v[90:91], s[22:23], v[148:149]
	v_add_f64 v[142:143], v[152:153], v[142:143]
	v_add_f64 v[126:127], v[154:155], v[126:127]
	v_mul_f64 v[144:145], v[104:105], s[24:25]
	v_fma_f64 v[148:149], v[90:91], s[58:59], v[148:149]
	v_add_f64 v[124:125], v[128:129], v[124:125]
	v_fma_f64 v[128:129], v[4:5], s[44:45], v[132:133]
	v_mul_f64 v[132:133], v[74:75], s[6:7]
	v_add_f64 v[130:131], v[18:19], v[130:131]
	s_mov_b32 s61, 0xbfefdd0d
	s_mov_b32 s60, s36
	v_fma_f64 v[150:151], v[84:85], s[48:49], v[134:135]
	v_add_f64 v[140:141], v[140:141], v[142:143]
	v_add_f64 v[126:127], v[146:147], v[126:127]
	v_fma_f64 v[142:143], v[100:101], s[60:61], v[144:145]
	v_mul_f64 v[146:147], v[92:93], s[34:35]
	v_add_f64 v[124:125], v[148:149], v[124:125]
	v_mul_f64 v[148:149], v[78:79], s[10:11]
	v_add_f64 v[132:133], v[106:107], v[132:133]
	v_add_f64 v[128:129], v[128:129], v[130:131]
	v_fma_f64 v[130:131], v[76:77], s[60:61], v[138:139]
	v_add_f64 v[140:141], v[150:151], v[140:141]
	v_add_f64 v[106:107], v[142:143], v[126:127]
	v_fma_f64 v[126:127], v[100:101], s[36:37], v[144:145]
	v_fma_f64 v[138:139], v[88:89], s[46:47], v[146:147]
	v_mul_f64 v[142:143], v[82:83], s[12:13]
	v_add_f64 v[144:145], v[108:109], v[148:149]
	v_add_f64 v[132:133], v[18:19], v[132:133]
	v_mul_f64 v[148:149], v[102:103], s[26:27]
	v_add_f64 v[128:129], v[130:131], v[128:129]
	v_fma_f64 v[130:131], v[80:81], s[56:57], v[136:137]
	v_add_f64 v[108:109], v[126:127], v[124:125]
	v_add_f64 v[124:125], v[138:139], v[140:141]
	v_mul_f64 v[126:127], v[86:87], s[16:17]
	v_add_f64 v[118:119], v[118:119], v[142:143]
	v_add_f64 v[132:133], v[144:145], v[132:133]
	v_fma_f64 v[136:137], v[90:91], s[40:41], v[148:149]
	v_mul_f64 v[138:139], v[74:75], s[10:11]
	v_add_f64 v[128:129], v[130:131], v[128:129]
	v_fma_f64 v[130:131], v[84:85], s[28:29], v[134:135]
	v_mul_f64 v[134:135], v[104:105], s[10:11]
	v_add_f64 v[110:111], v[110:111], v[126:127]
	v_mul_f64 v[126:127], v[98:99], s[24:25]
	v_add_f64 v[118:119], v[118:119], v[132:133]
	v_add_f64 v[124:125], v[136:137], v[124:125]
	v_fma_f64 v[132:133], v[0:1], s[22:23], v[138:139]
	v_mul_f64 v[136:137], v[78:79], s[16:17]
	v_add_f64 v[128:129], v[130:131], v[128:129]
	v_fma_f64 v[130:131], v[88:89], s[42:43], v[146:147]
	v_fma_f64 v[140:141], v[100:101], s[22:23], v[134:135]
	v_add_f64 v[114:115], v[114:115], v[126:127]
	v_add_f64 v[118:119], v[110:111], v[118:119]
	v_mul_f64 v[126:127], v[92:93], s[26:27]
	v_add_f64 v[132:133], v[18:19], v[132:133]
	v_fma_f64 v[142:143], v[4:5], s[30:31], v[136:137]
	v_mul_f64 v[144:145], v[82:83], s[26:27]
	v_add_f64 v[128:129], v[130:131], v[128:129]
	v_fma_f64 v[130:131], v[90:91], s[54:55], v[148:149]
	v_add_f64 v[110:111], v[140:141], v[124:125]
	v_add_f64 v[114:115], v[114:115], v[118:119]
	;; [unrolled: 1-line block ×3, first 2 shown]
	v_mul_f64 v[126:127], v[86:87], s[38:39]
	v_add_f64 v[118:119], v[142:143], v[132:133]
	v_fma_f64 v[124:125], v[76:77], s[40:41], v[144:145]
	v_mul_f64 v[146:147], v[102:103], s[34:35]
	v_add_f64 v[128:129], v[130:131], v[128:129]
	v_fma_f64 v[130:131], v[0:1], s[58:59], v[138:139]
	v_mul_f64 v[138:139], v[98:99], s[34:35]
	v_fma_f64 v[136:137], v[4:5], s[50:51], v[136:137]
	v_mul_f64 v[132:133], v[104:105], s[38:39]
	v_add_f64 v[114:115], v[116:117], v[114:115]
	v_add_f64 v[118:119], v[124:125], v[118:119]
	v_fma_f64 v[124:125], v[80:81], s[44:45], v[126:127]
	v_add_f64 v[120:121], v[120:121], v[146:147]
	v_add_f64 v[130:131], v[18:19], v[130:131]
	v_mul_f64 v[142:143], v[92:93], s[24:25]
	v_mul_f64 v[116:117], v[74:75], s[24:25]
	v_add_f64 v[112:113], v[112:113], v[132:133]
	v_fma_f64 v[132:133], v[100:101], s[58:59], v[134:135]
	v_fma_f64 v[126:127], v[80:81], s[52:53], v[126:127]
	v_add_f64 v[118:119], v[124:125], v[118:119]
	v_fma_f64 v[124:125], v[84:85], s[46:47], v[138:139]
	v_add_f64 v[130:131], v[136:137], v[130:131]
	;; [unrolled: 2-line block ×3, first 2 shown]
	v_fma_f64 v[134:135], v[0:1], s[36:37], v[116:117]
	v_mul_f64 v[140:141], v[78:79], s[34:35]
	v_add_f64 v[128:129], v[132:133], v[128:129]
	v_mul_f64 v[132:133], v[102:103], s[12:13]
	v_add_f64 v[118:119], v[124:125], v[118:119]
	v_fma_f64 v[124:125], v[88:89], s[60:61], v[142:143]
	v_add_f64 v[130:131], v[136:137], v[130:131]
	v_add_f64 v[112:113], v[112:113], v[114:115]
	v_fma_f64 v[116:117], v[0:1], s[60:61], v[116:117]
	v_add_f64 v[120:121], v[18:19], v[134:135]
	v_fma_f64 v[134:135], v[4:5], s[46:47], v[140:141]
	v_mul_f64 v[144:145], v[82:83], s[10:11]
	v_mul_f64 v[136:137], v[86:87], s[12:13]
	v_add_f64 v[114:115], v[124:125], v[118:119]
	v_add_f64 v[118:119], v[126:127], v[130:131]
	v_fma_f64 v[124:125], v[84:85], s[42:43], v[138:139]
	v_fma_f64 v[126:127], v[90:91], s[48:49], v[132:133]
	;; [unrolled: 1-line block ×3, first 2 shown]
	v_add_f64 v[116:117], v[18:19], v[116:117]
	v_mul_f64 v[140:141], v[104:105], s[6:7]
	v_add_f64 v[120:121], v[134:135], v[120:121]
	v_fma_f64 v[134:135], v[76:77], s[58:59], v[144:145]
	v_fma_f64 v[130:131], v[80:81], s[28:29], v[136:137]
	v_add_f64 v[118:119], v[124:125], v[118:119]
	v_fma_f64 v[124:125], v[88:89], s[36:37], v[142:143]
	v_add_f64 v[114:115], v[126:127], v[114:115]
	v_add_f64 v[116:117], v[138:139], v[116:117]
	v_fma_f64 v[138:139], v[76:77], s[22:23], v[144:145]
	v_fma_f64 v[142:143], v[100:101], s[56:57], v[140:141]
	v_add_f64 v[120:121], v[134:135], v[120:121]
	v_mul_f64 v[134:135], v[98:99], s[38:39]
	v_fma_f64 v[136:137], v[80:81], s[48:49], v[136:137]
	v_add_f64 v[118:119], v[124:125], v[118:119]
	v_mul_f64 v[124:125], v[74:75], s[38:39]
	v_mul_f64 v[146:147], v[82:83], s[34:35]
	v_add_f64 v[116:117], v[138:139], v[116:117]
	v_add_f64 v[114:115], v[142:143], v[114:115]
	v_mul_f64 v[142:143], v[78:79], s[6:7]
	v_add_f64 v[120:121], v[130:131], v[120:121]
	v_fma_f64 v[126:127], v[84:85], s[44:45], v[134:135]
	v_mul_f64 v[130:131], v[92:93], s[16:17]
	v_fma_f64 v[138:139], v[0:1], s[44:45], v[124:125]
	v_fma_f64 v[134:135], v[84:85], s[52:53], v[134:135]
	v_add_f64 v[116:117], v[136:137], v[116:117]
	v_fma_f64 v[132:133], v[90:91], s[28:29], v[132:133]
	v_mul_f64 v[144:145], v[102:103], s[6:7]
	v_fma_f64 v[140:141], v[100:101], s[18:19], v[140:141]
	v_add_f64 v[120:121], v[126:127], v[120:121]
	v_fma_f64 v[126:127], v[88:89], s[50:51], v[130:131]
	v_add_f64 v[136:137], v[18:19], v[138:139]
	;; [unrolled: 2-line block ×4, first 2 shown]
	v_mul_f64 v[132:133], v[104:105], s[26:27]
	v_fma_f64 v[124:125], v[0:1], s[52:53], v[124:125]
	v_add_f64 v[120:121], v[126:127], v[120:121]
	v_fma_f64 v[126:127], v[90:91], s[18:19], v[144:145]
	v_add_f64 v[134:135], v[138:139], v[136:137]
	v_fma_f64 v[136:137], v[76:77], s[42:43], v[146:147]
	v_add_f64 v[116:117], v[130:131], v[116:117]
	v_add_f64 v[118:119], v[140:141], v[118:119]
	v_mul_f64 v[138:139], v[86:87], s[10:11]
	v_fma_f64 v[140:141], v[4:5], s[18:19], v[142:143]
	v_add_f64 v[124:125], v[18:19], v[124:125]
	v_add_f64 v[120:121], v[126:127], v[120:121]
	v_fma_f64 v[126:127], v[100:101], s[40:41], v[132:133]
	v_add_f64 v[130:131], v[136:137], v[134:135]
	v_add_f64 v[134:135], v[66:67], v[18:19]
	v_mul_f64 v[142:143], v[98:99], s[26:27]
	v_fma_f64 v[136:137], v[80:81], s[58:59], v[138:139]
	v_mul_f64 v[148:149], v[78:79], s[24:25]
	v_add_f64 v[124:125], v[140:141], v[124:125]
	v_fma_f64 v[140:141], v[76:77], s[46:47], v[146:147]
	v_add_f64 v[120:121], v[126:127], v[120:121]
	v_mul_f64 v[126:127], v[74:75], s[26:27]
	v_add_f64 v[134:135], v[70:71], v[134:135]
	v_mul_f64 v[150:151], v[92:93], s[12:13]
	v_add_f64 v[130:131], v[136:137], v[130:131]
	v_fma_f64 v[136:137], v[84:85], s[40:41], v[142:143]
	v_fma_f64 v[138:139], v[80:81], s[22:23], v[138:139]
	v_add_f64 v[124:125], v[140:141], v[124:125]
	v_mul_f64 v[152:153], v[82:83], s[6:7]
	v_fma_f64 v[146:147], v[0:1], s[54:55], v[126:127]
	v_add_f64 v[134:135], v[62:63], v[134:135]
	v_fma_f64 v[144:145], v[90:91], s[56:57], v[144:145]
	v_mul_f64 v[154:155], v[102:103], s[24:25]
	v_add_f64 v[130:131], v[136:137], v[130:131]
	v_fma_f64 v[136:137], v[88:89], s[48:49], v[150:151]
	v_add_f64 v[124:125], v[138:139], v[124:125]
	v_fma_f64 v[138:139], v[84:85], s[54:55], v[142:143]
	v_add_f64 v[140:141], v[18:19], v[146:147]
	v_add_f64 v[134:135], v[58:59], v[134:135]
	v_fma_f64 v[146:147], v[4:5], s[36:37], v[148:149]
	v_fma_f64 v[142:143], v[76:77], s[56:57], v[152:153]
	v_add_f64 v[116:117], v[144:145], v[116:117]
	v_add_f64 v[130:131], v[136:137], v[130:131]
	v_fma_f64 v[136:137], v[90:91], s[36:37], v[154:155]
	v_fma_f64 v[126:127], v[0:1], s[40:41], v[126:127]
	v_add_f64 v[124:125], v[138:139], v[124:125]
	v_add_f64 v[134:135], v[54:55], v[134:135]
	v_add_f64 v[140:141], v[146:147], v[140:141]
	v_mul_f64 v[146:147], v[86:87], s[34:35]
	v_fma_f64 v[144:145], v[88:89], s[28:29], v[150:151]
	v_mul_f64 v[74:75], v[74:75], s[12:13]
	v_fma_f64 v[148:149], v[4:5], s[60:61], v[148:149]
	v_add_f64 v[126:127], v[18:19], v[126:127]
	v_add_f64 v[130:131], v[136:137], v[130:131]
	v_add_f64 v[134:135], v[50:51], v[134:135]
	v_add_f64 v[138:139], v[142:143], v[140:141]
	v_fma_f64 v[140:141], v[80:81], s[46:47], v[146:147]
	v_mul_f64 v[142:143], v[98:99], s[16:17]
	v_add_f64 v[124:125], v[144:145], v[124:125]
	v_mul_f64 v[78:79], v[78:79], s[26:27]
	v_fma_f64 v[144:145], v[0:1], s[28:29], v[74:75]
	v_fma_f64 v[0:1], v[0:1], s[48:49], v[74:75]
	v_add_f64 v[134:135], v[46:47], v[134:135]
	v_add_f64 v[126:127], v[148:149], v[126:127]
	;; [unrolled: 1-line block ×3, first 2 shown]
	v_fma_f64 v[138:139], v[84:85], s[30:31], v[142:143]
	v_fma_f64 v[148:149], v[76:77], s[18:19], v[152:153]
	v_mul_f64 v[82:83], v[82:83], s[38:39]
	v_add_f64 v[144:145], v[18:19], v[144:145]
	v_add_f64 v[0:1], v[18:19], v[0:1]
	;; [unrolled: 1-line block ×3, first 2 shown]
	v_fma_f64 v[146:147], v[80:81], s[42:43], v[146:147]
	v_mul_f64 v[74:75], v[92:93], s[10:11]
	v_add_f64 v[136:137], v[138:139], v[136:137]
	v_fma_f64 v[138:139], v[4:5], s[40:41], v[78:79]
	v_fma_f64 v[4:5], v[4:5], s[54:55], v[78:79]
	v_mul_f64 v[78:79], v[86:87], s[24:25]
	v_add_f64 v[126:127], v[148:149], v[126:127]
	v_add_f64 v[86:87], v[38:39], v[134:135]
	v_fma_f64 v[18:19], v[76:77], s[52:53], v[82:83]
	v_fma_f64 v[142:143], v[84:85], s[50:51], v[142:143]
	;; [unrolled: 1-line block ×3, first 2 shown]
	v_add_f64 v[134:135], v[138:139], v[144:145]
	v_add_f64 v[0:1], v[4:5], v[0:1]
	v_fma_f64 v[4:5], v[76:77], s[44:45], v[82:83]
	v_add_f64 v[126:127], v[146:147], v[126:127]
	v_add_f64 v[82:83], v[34:35], v[86:87]
	v_fma_f64 v[76:77], v[80:81], s[60:61], v[78:79]
	v_mul_f64 v[86:87], v[98:99], s[10:11]
	v_fma_f64 v[138:139], v[88:89], s[58:59], v[74:75]
	v_add_f64 v[18:19], v[18:19], v[134:135]
	v_mul_f64 v[98:99], v[102:103], s[38:39]
	v_add_f64 v[0:1], v[4:5], v[0:1]
	v_fma_f64 v[4:5], v[80:81], s[36:37], v[78:79]
	v_add_f64 v[78:79], v[30:31], v[82:83]
	v_add_f64 v[126:127], v[142:143], v[126:127]
	v_fma_f64 v[74:75], v[88:89], s[22:23], v[74:75]
	v_mul_f64 v[80:81], v[92:93], s[6:7]
	v_add_f64 v[18:19], v[76:77], v[18:19]
	v_fma_f64 v[76:77], v[84:85], s[58:59], v[86:87]
	v_add_f64 v[82:83], v[138:139], v[136:137]
	v_add_f64 v[0:1], v[4:5], v[0:1]
	;; [unrolled: 1-line block ×3, first 2 shown]
	v_fma_f64 v[78:79], v[84:85], s[22:23], v[86:87]
	v_add_f64 v[74:75], v[74:75], v[126:127]
	v_mul_f64 v[84:85], v[102:103], s[16:17]
	v_fma_f64 v[86:87], v[90:91], s[44:45], v[98:99]
	v_add_f64 v[18:19], v[76:77], v[18:19]
	v_fma_f64 v[76:77], v[88:89], s[18:19], v[80:81]
	v_fma_f64 v[80:81], v[88:89], s[56:57], v[80:81]
	v_add_f64 v[4:5], v[22:23], v[4:5]
	v_add_f64 v[0:1], v[78:79], v[0:1]
	v_fma_f64 v[92:93], v[90:91], s[52:53], v[98:99]
	v_mul_f64 v[78:79], v[104:105], s[16:17]
	v_add_f64 v[74:75], v[86:87], v[74:75]
	v_mul_f64 v[86:87], v[104:105], s[34:35]
	v_add_f64 v[18:19], v[76:77], v[18:19]
	v_fma_f64 v[76:77], v[90:91], s[30:31], v[84:85]
	v_add_f64 v[4:5], v[14:15], v[4:5]
	v_mul_f64 v[88:89], v[104:105], s[12:13]
	v_fma_f64 v[84:85], v[90:91], s[50:51], v[84:85]
	v_add_f64 v[0:1], v[80:81], v[0:1]
	v_add_f64 v[98:99], v[140:141], v[124:125]
	v_fma_f64 v[90:91], v[100:101], s[42:43], v[86:87]
	v_add_f64 v[82:83], v[92:93], v[82:83]
	v_add_f64 v[18:19], v[76:77], v[18:19]
	;; [unrolled: 1-line block ×3, first 2 shown]
	v_fma_f64 v[80:81], v[100:101], s[30:31], v[78:79]
	v_fma_f64 v[92:93], v[100:101], s[48:49], v[88:89]
	;; [unrolled: 1-line block ×6, first 2 shown]
	v_add_f64 v[0:1], v[84:85], v[0:1]
	v_add_f64 v[18:19], v[90:91], v[18:19]
	;; [unrolled: 1-line block ×6, first 2 shown]
	v_mul_u32_u24_e32 v84, 0x88, v122
	v_add_f64 v[78:79], v[78:79], v[130:131]
	v_add_f64 v[82:83], v[88:89], v[82:83]
	v_add3_u32 v84, 0, v84, v123
	v_add_f64 v[0:1], v[86:87], v[0:1]
	ds_write2_b64 v84, v[4:5], v[18:19] offset1:1
	ds_write2_b64 v84, v[74:75], v[80:81] offset0:2 offset1:3
	ds_write2_b64 v84, v[76:77], v[118:119] offset0:4 offset1:5
	ds_write2_b64 v84, v[112:113], v[128:129] offset0:6 offset1:7
	ds_write2_b64 v84, v[108:109], v[106:107] offset0:8 offset1:9
	ds_write2_b64 v84, v[110:111], v[2:3] offset0:10 offset1:11
	ds_write2_b64 v84, v[114:115], v[120:121] offset0:12 offset1:13
	ds_write2_b64 v84, v[78:79], v[82:83] offset0:14 offset1:15
	ds_write_b64 v84, v[0:1] offset:128
.LBB0_13:
	s_or_b64 exec, exec, s[2:3]
	v_add_f64 v[118:119], v[66:67], -v[6:7]
	v_add_f64 v[114:115], v[8:9], v[68:69]
	v_add_f64 v[110:111], v[70:71], -v[10:11]
	v_add_f64 v[108:109], v[12:13], v[72:73]
	;; [unrolled: 2-line block ×4, first 2 shown]
	v_mul_f64 v[116:117], v[118:119], s[18:19]
	v_add_f64 v[62:63], v[54:55], -v[26:27]
	v_mul_f64 v[112:113], v[110:111], s[22:23]
	v_add_f64 v[58:59], v[28:29], v[56:57]
	v_mul_f64 v[106:107], v[104:105], s[28:29]
	v_add_f64 v[54:55], v[50:51], -v[30:31]
	v_mul_f64 v[100:101], v[98:99], s[30:31]
	v_add_f64 v[50:51], v[32:33], v[52:53]
	v_fma_f64 v[0:1], v[114:115], s[6:7], v[116:117]
	v_mul_f64 v[66:67], v[62:63], s[36:37]
	v_fma_f64 v[4:5], v[108:109], s[10:11], v[112:113]
	v_add_f64 v[26:27], v[46:47], -v[34:35]
	v_fma_f64 v[6:7], v[102:103], s[12:13], v[106:107]
	v_mul_f64 v[46:47], v[54:55], s[40:41]
	v_add_f64 v[22:23], v[36:37], v[48:49]
	v_add_f64 v[14:15], v[42:43], -v[38:39]
	v_add_f64 v[0:1], v[20:21], v[0:1]
	s_waitcnt lgkmcnt(0)
	s_barrier
	v_mul_f64 v[30:31], v[26:27], s[42:43]
	v_fma_f64 v[18:19], v[50:51], s[26:27], v[46:47]
	v_mul_f64 v[10:11], v[14:15], s[44:45]
	v_add_f64 v[0:1], v[4:5], v[0:1]
	v_fma_f64 v[4:5], v[70:71], s[16:17], v[100:101]
	v_add_f64 v[0:1], v[6:7], v[0:1]
	v_fma_f64 v[6:7], v[58:59], s[24:25], v[66:67]
	v_add_f64 v[0:1], v[4:5], v[0:1]
	v_add_f64 v[4:5], v[40:41], v[44:45]
	;; [unrolled: 1-line block ×3, first 2 shown]
	v_fma_f64 v[6:7], v[22:23], s[34:35], v[30:31]
	v_add_f64 v[0:1], v[18:19], v[0:1]
	v_lshlrev_b32_e32 v18, 3, v122
	v_add3_u32 v121, 0, v123, v18
	v_add_u32_e32 v126, 0, v18
	v_fma_f64 v[18:19], v[4:5], s[38:39], v[10:11]
	v_add_u32_e32 v120, v126, v123
	v_add_u32_e32 v42, 0x800, v120
	;; [unrolled: 1-line block ×3, first 2 shown]
	v_add_f64 v[6:7], v[6:7], v[0:1]
	v_add_u32_e32 v125, 0x1800, v120
	ds_read_b64 v[0:1], v121
	ds_read2_b64 v[86:89], v120 offset0:102 offset1:204
	v_add_u32_e32 v43, 0xc00, v120
	ds_read2_b64 v[90:93], v42 offset0:50 offset1:152
	ds_read2_b64 v[78:81], v43 offset0:126 offset1:228
	;; [unrolled: 1-line block ×4, first 2 shown]
	v_add_f64 v[6:7], v[18:19], v[6:7]
	s_waitcnt lgkmcnt(0)
	s_barrier
	s_and_saveexec_b64 s[2:3], s[0:1]
	s_cbranch_execz .LBB0_15
; %bb.14:
	v_add_f64 v[18:19], v[68:69], v[20:21]
	s_mov_b32 s22, 0x5d8e7cdc
	s_mov_b32 s23, 0xbfd71e95
	v_mul_f64 v[68:69], v[114:115], s[6:7]
	s_mov_b32 s44, 0x7c9e640b
	v_mul_f64 v[127:128], v[108:109], s[10:11]
	v_mul_f64 v[131:132], v[70:71], s[16:17]
	s_mov_b32 s10, 0x370991
	v_add_f64 v[72:73], v[72:73], v[18:19]
	v_mul_f64 v[18:19], v[4:5], s[38:39]
	s_mov_b32 s17, 0xbfe58eea
	s_mov_b32 s16, 0x2a9d6da3
	;; [unrolled: 1-line block ×6, first 2 shown]
	v_add_f64 v[64:65], v[64:65], v[72:73]
	s_mov_b32 s38, 0xacd6c6b4
	s_mov_b32 s11, 0x3fedd6d0
	;; [unrolled: 1-line block ×6, first 2 shown]
	v_mul_f64 v[72:73], v[118:119], s[18:19]
	v_add_f64 v[60:61], v[60:61], v[64:65]
	v_mul_f64 v[64:65], v[118:119], s[40:41]
	v_mul_f64 v[135:136], v[118:119], s[28:29]
	v_add_f64 v[68:69], v[68:69], -v[116:117]
	v_mul_f64 v[34:35], v[22:23], s[34:35]
	s_mov_b32 s0, 0x75d4884
	s_mov_b32 s34, 0x2b2883cd
	s_mov_b32 s30, 0x6c9a05f6
	v_add_f64 v[56:57], v[56:57], v[60:61]
	v_mul_f64 v[60:61], v[118:119], s[44:45]
	v_mul_f64 v[129:130], v[102:103], s[12:13]
	;; [unrolled: 1-line block ×3, first 2 shown]
	s_mov_b32 s1, 0x3fe7a5f6
	s_mov_b32 s35, 0x3fdc86fa
	;; [unrolled: 1-line block ×4, first 2 shown]
	v_add_f64 v[52:53], v[52:53], v[56:57]
	v_mul_f64 v[56:57], v[118:119], s[16:17]
	s_mov_b32 s24, 0x910ea3b9
	s_mov_b32 s36, 0x7faef3
	;; [unrolled: 1-line block ×6, first 2 shown]
	v_add_f64 v[48:49], v[48:49], v[52:53]
	v_mul_f64 v[52:53], v[118:119], s[22:23]
	s_mov_b32 s37, 0xbfef7484
	s_mov_b32 s49, 0x3fe0d888
	v_mul_f64 v[137:138], v[110:111], s[40:41]
	v_mul_f64 v[139:140], v[110:111], s[30:31]
	s_mov_b32 s48, s28
	v_fma_f64 v[145:146], v[114:115], s[0:1], -v[56:57]
	v_add_f64 v[44:45], v[44:45], v[48:49]
	v_mul_f64 v[48:49], v[118:119], s[38:39]
	v_mul_f64 v[118:119], v[110:111], s[16:17]
	v_fma_f64 v[116:117], v[114:115], s[10:11], -v[52:53]
	v_fma_f64 v[52:53], v[114:115], s[10:11], v[52:53]
	v_fma_f64 v[147:148], v[114:115], s[6:7], -v[64:65]
	v_fma_f64 v[64:65], v[114:115], s[6:7], v[64:65]
	v_fma_f64 v[149:150], v[114:115], s[12:13], -v[72:73]
	v_add_f64 v[40:41], v[40:41], v[44:45]
	v_mul_f64 v[44:45], v[110:111], s[48:49]
	v_fma_f64 v[72:73], v[114:115], s[12:13], v[72:73]
	v_fma_f64 v[151:152], v[114:115], s[36:37], -v[48:49]
	v_fma_f64 v[48:49], v[114:115], s[36:37], v[48:49]
	v_mul_f64 v[38:39], v[50:51], s[26:27]
	s_mov_b32 s26, 0x6ed5f1bb
	s_mov_b32 s27, 0xbfe348c8
	v_add_f64 v[36:37], v[36:37], v[40:41]
	v_fma_f64 v[40:41], v[114:115], s[0:1], v[56:57]
	v_fma_f64 v[56:57], v[114:115], s[34:35], -v[60:61]
	v_fma_f64 v[60:61], v[114:115], s[34:35], v[60:61]
	s_mov_b32 s47, 0x3feca52d
	s_mov_b32 s46, s44
	;; [unrolled: 1-line block ×4, first 2 shown]
	v_add_f64 v[32:33], v[32:33], v[36:37]
	v_fma_f64 v[36:37], v[114:115], s[24:25], -v[135:136]
	v_fma_f64 v[135:136], v[114:115], s[24:25], v[135:136]
	v_fma_f64 v[114:115], v[108:109], s[0:1], -v[118:119]
	v_mul_f64 v[143:144], v[110:111], s[46:47]
	v_fma_f64 v[118:119], v[108:109], s[0:1], v[118:119]
	v_fma_f64 v[153:154], v[108:109], s[6:7], -v[137:138]
	v_add_f64 v[52:53], v[20:21], v[52:53]
	v_add_f64 v[28:29], v[28:29], v[32:33]
	v_fma_f64 v[32:33], v[108:109], s[6:7], v[137:138]
	v_fma_f64 v[137:138], v[108:109], s[26:27], -v[139:140]
	v_fma_f64 v[139:140], v[108:109], s[26:27], v[139:140]
	v_add_f64 v[60:61], v[20:21], v[60:61]
	v_mul_f64 v[141:142], v[110:111], s[38:39]
	v_fma_f64 v[157:158], v[108:109], s[24:25], -v[44:45]
	v_add_f64 v[72:73], v[20:21], v[72:73]
	v_add_f64 v[24:25], v[24:25], v[28:29]
	;; [unrolled: 1-line block ×4, first 2 shown]
	v_fma_f64 v[44:45], v[108:109], s[24:25], v[44:45]
	v_add_f64 v[68:69], v[20:21], v[68:69]
	v_add_f64 v[135:136], v[20:21], v[135:136]
	v_fma_f64 v[155:156], v[108:109], s[36:37], -v[141:142]
	v_fma_f64 v[141:142], v[108:109], s[36:37], v[141:142]
	v_add_f64 v[16:17], v[16:17], v[24:25]
	v_add_f64 v[40:41], v[20:21], v[40:41]
	;; [unrolled: 1-line block ×10, first 2 shown]
	v_mul_f64 v[114:115], v[104:105], s[44:45]
	v_add_f64 v[28:29], v[118:119], v[52:53]
	v_add_f64 v[52:53], v[139:140], v[60:61]
	v_add_f64 v[60:61], v[127:128], -v[112:113]
	v_fma_f64 v[112:113], v[108:109], s[34:35], v[143:144]
	v_add_f64 v[20:21], v[20:21], v[48:49]
	v_add_f64 v[8:9], v[8:9], v[12:13]
	v_mul_f64 v[12:13], v[110:111], s[42:43]
	v_add_f64 v[48:49], v[153:154], v[116:117]
	v_fma_f64 v[110:111], v[108:109], s[34:35], -v[143:144]
	v_add_f64 v[44:45], v[44:45], v[72:73]
	v_fma_f64 v[72:73], v[102:103], s[34:35], -v[114:115]
	s_mov_b32 s51, 0x3fc7851a
	s_mov_b32 s50, s38
	v_add_f64 v[60:61], v[60:61], v[68:69]
	v_fma_f64 v[116:117], v[108:109], s[10:11], -v[12:13]
	v_fma_f64 v[12:13], v[108:109], s[10:11], v[12:13]
	v_mul_f64 v[108:109], v[104:105], s[30:31]
	v_add_f64 v[68:69], v[112:113], v[135:136]
	v_mul_f64 v[112:113], v[104:105], s[50:51]
	s_mov_b32 s51, 0x3feec746
	s_mov_b32 s50, s18
	v_add_f64 v[32:33], v[32:33], v[40:41]
	v_add_f64 v[16:17], v[72:73], v[16:17]
	;; [unrolled: 1-line block ×3, first 2 shown]
	v_fma_f64 v[20:21], v[102:103], s[34:35], v[114:115]
	v_fma_f64 v[72:73], v[102:103], s[26:27], -v[108:109]
	v_mul_f64 v[114:115], v[104:105], s[50:51]
	v_fma_f64 v[108:109], v[102:103], s[26:27], v[108:109]
	s_mov_b32 s17, 0x3fe58eea
	v_add_f64 v[40:41], v[137:138], v[56:57]
	v_add_f64 v[56:57], v[155:156], v[145:146]
	;; [unrolled: 1-line block ×5, first 2 shown]
	v_fma_f64 v[28:29], v[102:103], s[36:37], -v[112:113]
	v_mul_f64 v[116:117], v[104:105], s[16:17]
	v_add_f64 v[48:49], v[72:73], v[48:49]
	v_fma_f64 v[72:73], v[102:103], s[12:13], -v[114:115]
	v_add_f64 v[32:33], v[108:109], v[32:33]
	v_fma_f64 v[108:109], v[102:103], s[12:13], v[114:115]
	v_mul_f64 v[114:115], v[104:105], s[40:41]
	v_add_f64 v[24:25], v[141:142], v[24:25]
	v_add_f64 v[64:65], v[157:158], v[64:65]
	v_fma_f64 v[112:113], v[102:103], s[36:37], v[112:113]
	v_add_f64 v[28:29], v[28:29], v[40:41]
	v_fma_f64 v[40:41], v[102:103], s[0:1], -v[116:117]
	v_add_f64 v[56:57], v[72:73], v[56:57]
	v_add_f64 v[72:73], v[129:130], -v[106:107]
	v_fma_f64 v[106:107], v[102:103], s[6:7], -v[114:115]
	v_mul_f64 v[104:105], v[104:105], s[28:29]
	v_add_f64 v[24:25], v[108:109], v[24:25]
	v_add_f64 v[52:53], v[112:113], v[52:53]
	v_fma_f64 v[112:113], v[102:103], s[0:1], v[116:117]
	v_add_f64 v[40:41], v[40:41], v[64:65]
	v_fma_f64 v[64:65], v[102:103], s[6:7], v[114:115]
	v_mul_f64 v[108:109], v[98:99], s[40:41]
	v_add_f64 v[60:61], v[72:73], v[60:61]
	v_mul_f64 v[72:73], v[98:99], s[38:39]
	v_add_f64 v[36:37], v[106:107], v[36:37]
	v_fma_f64 v[106:107], v[102:103], s[24:25], -v[104:105]
	v_fma_f64 v[102:103], v[102:103], s[24:25], v[104:105]
	v_add_f64 v[44:45], v[112:113], v[44:45]
	v_add_f64 v[64:65], v[64:65], v[68:69]
	v_mul_f64 v[68:69], v[98:99], s[50:51]
	v_fma_f64 v[104:105], v[70:71], s[6:7], -v[108:109]
	v_fma_f64 v[108:109], v[70:71], s[6:7], v[108:109]
	v_fma_f64 v[112:113], v[70:71], s[36:37], -v[72:73]
	v_fma_f64 v[72:73], v[70:71], s[36:37], v[72:73]
	v_add_f64 v[12:13], v[102:103], v[12:13]
	v_mul_f64 v[102:103], v[98:99], s[42:43]
	s_mov_b32 s53, 0x3fe9895b
	s_mov_b32 s52, s30
	v_add_f64 v[106:107], v[106:107], v[110:111]
	v_fma_f64 v[110:111], v[70:71], s[12:13], -v[68:69]
	v_add_f64 v[16:17], v[104:105], v[16:17]
	v_add_f64 v[20:21], v[108:109], v[20:21]
	;; [unrolled: 1-line block ×3, first 2 shown]
	v_mul_f64 v[72:73], v[98:99], s[44:45]
	v_fma_f64 v[68:69], v[70:71], s[12:13], v[68:69]
	v_fma_f64 v[104:105], v[70:71], s[10:11], -v[102:103]
	v_mul_f64 v[108:109], v[98:99], s[52:53]
	v_add_f64 v[28:29], v[110:111], v[28:29]
	v_fma_f64 v[102:103], v[70:71], s[10:11], v[102:103]
	v_add_f64 v[66:67], v[133:134], -v[66:67]
	v_add_f64 v[48:49], v[112:113], v[48:49]
	v_fma_f64 v[110:111], v[70:71], s[34:35], -v[72:73]
	v_add_f64 v[52:53], v[68:69], v[52:53]
	v_add_f64 v[56:57], v[104:105], v[56:57]
	v_fma_f64 v[68:69], v[70:71], s[34:35], v[72:73]
	v_mul_f64 v[72:73], v[98:99], s[16:17]
	v_add_f64 v[98:99], v[131:132], -v[100:101]
	v_fma_f64 v[100:101], v[70:71], s[26:27], -v[108:109]
	v_mul_f64 v[104:105], v[62:63], s[18:19]
	v_add_f64 v[24:25], v[102:103], v[24:25]
	v_fma_f64 v[102:103], v[70:71], s[26:27], v[108:109]
	v_add_f64 v[40:41], v[110:111], v[40:41]
	v_add_f64 v[44:45], v[68:69], v[44:45]
	v_fma_f64 v[68:69], v[70:71], s[0:1], -v[72:73]
	v_fma_f64 v[70:71], v[70:71], s[0:1], v[72:73]
	v_add_f64 v[60:61], v[98:99], v[60:61]
	v_add_f64 v[36:37], v[100:101], v[36:37]
	v_mul_f64 v[72:73], v[62:63], s[48:49]
	v_fma_f64 v[98:99], v[58:59], s[12:13], -v[104:105]
	v_mul_f64 v[100:101], v[62:63], s[16:17]
	v_add_f64 v[64:65], v[102:103], v[64:65]
	v_add_f64 v[68:69], v[68:69], v[106:107]
	;; [unrolled: 1-line block ×3, first 2 shown]
	v_fma_f64 v[70:71], v[58:59], s[12:13], v[104:105]
	v_mul_f64 v[102:103], v[62:63], s[44:45]
	v_fma_f64 v[104:105], v[58:59], s[24:25], -v[72:73]
	v_fma_f64 v[72:73], v[58:59], s[24:25], v[72:73]
	v_add_f64 v[16:17], v[98:99], v[16:17]
	v_fma_f64 v[98:99], v[58:59], s[0:1], -v[100:101]
	v_fma_f64 v[100:101], v[58:59], s[0:1], v[100:101]
	v_mul_f64 v[106:107], v[62:63], s[38:39]
	v_add_f64 v[20:21], v[70:71], v[20:21]
	v_fma_f64 v[70:71], v[58:59], s[34:35], -v[102:103]
	v_add_f64 v[60:61], v[66:67], v[60:61]
	v_add_f64 v[32:33], v[72:73], v[32:33]
	v_fma_f64 v[72:73], v[58:59], s[34:35], v[102:103]
	v_add_f64 v[28:29], v[98:99], v[28:29]
	v_add_f64 v[52:53], v[100:101], v[52:53]
	v_fma_f64 v[98:99], v[58:59], s[36:37], -v[106:107]
	v_mul_f64 v[100:101], v[62:63], s[22:23]
	v_add_f64 v[56:57], v[70:71], v[56:57]
	v_fma_f64 v[70:71], v[58:59], s[36:37], v[106:107]
	v_mul_f64 v[62:63], v[62:63], s[30:31]
	v_add_f64 v[24:25], v[72:73], v[24:25]
	v_mul_f64 v[72:73], v[54:55], s[30:31]
	v_mul_f64 v[66:67], v[54:55], s[50:51]
	v_add_f64 v[40:41], v[98:99], v[40:41]
	v_fma_f64 v[98:99], v[58:59], s[10:11], -v[100:101]
	v_fma_f64 v[100:101], v[58:59], s[10:11], v[100:101]
	v_add_f64 v[44:45], v[70:71], v[44:45]
	v_fma_f64 v[70:71], v[58:59], s[26:27], -v[62:63]
	v_fma_f64 v[58:59], v[58:59], s[26:27], v[62:63]
	v_fma_f64 v[62:63], v[50:51], s[26:27], -v[72:73]
	v_add_f64 v[48:49], v[104:105], v[48:49]
	s_mov_b32 s45, 0x3fefdd0d
	v_add_f64 v[36:37], v[98:99], v[36:37]
	v_mul_f64 v[98:99], v[54:55], s[22:23]
	s_mov_b32 s44, s40
	v_add_f64 v[68:69], v[70:71], v[68:69]
	v_add_f64 v[12:13], v[58:59], v[12:13]
	;; [unrolled: 1-line block ×3, first 2 shown]
	v_fma_f64 v[58:59], v[50:51], s[26:27], v[72:73]
	v_fma_f64 v[62:63], v[50:51], s[12:13], -v[66:67]
	v_mul_f64 v[70:71], v[54:55], s[28:29]
	v_fma_f64 v[72:73], v[50:51], s[10:11], -v[98:99]
	v_add_f64 v[64:65], v[100:101], v[64:65]
	v_fma_f64 v[66:67], v[50:51], s[12:13], v[66:67]
	v_mul_f64 v[100:101], v[54:55], s[44:45]
	v_add_f64 v[38:39], v[38:39], -v[46:47]
	v_add_f64 v[20:21], v[58:59], v[20:21]
	v_fma_f64 v[58:59], v[50:51], s[10:11], v[98:99]
	v_add_f64 v[48:49], v[62:63], v[48:49]
	v_fma_f64 v[62:63], v[50:51], s[24:25], -v[70:71]
	v_add_f64 v[28:29], v[72:73], v[28:29]
	v_mul_f64 v[72:73], v[54:55], s[38:39]
	v_mul_f64 v[46:47], v[54:55], s[46:47]
	v_add_f64 v[32:33], v[66:67], v[32:33]
	v_fma_f64 v[66:67], v[50:51], s[24:25], v[70:71]
	v_fma_f64 v[70:71], v[50:51], s[6:7], -v[100:101]
	v_add_f64 v[52:53], v[58:59], v[52:53]
	v_fma_f64 v[58:59], v[50:51], s[6:7], v[100:101]
	v_add_f64 v[56:57], v[62:63], v[56:57]
	v_fma_f64 v[54:55], v[50:51], s[36:37], -v[72:73]
	v_fma_f64 v[62:63], v[50:51], s[36:37], v[72:73]
	v_add_f64 v[38:39], v[38:39], v[60:61]
	v_fma_f64 v[60:61], v[50:51], s[34:35], -v[46:47]
	v_fma_f64 v[46:47], v[50:51], s[34:35], v[46:47]
	v_mul_f64 v[50:51], v[26:27], s[46:47]
	v_add_f64 v[44:45], v[58:59], v[44:45]
	v_mul_f64 v[58:59], v[26:27], s[28:29]
	v_add_f64 v[24:25], v[66:67], v[24:25]
	;; [unrolled: 2-line block ×3, first 2 shown]
	v_add_f64 v[54:55], v[62:63], v[64:65]
	v_add_f64 v[12:13], v[46:47], v[12:13]
	v_fma_f64 v[46:47], v[22:23], s[34:35], -v[50:51]
	v_fma_f64 v[50:51], v[22:23], s[34:35], v[50:51]
	v_fma_f64 v[64:65], v[22:23], s[24:25], -v[58:59]
	v_fma_f64 v[58:59], v[22:23], s[24:25], v[58:59]
	v_mul_f64 v[62:63], v[26:27], s[40:41]
	v_add_f64 v[30:31], v[34:35], -v[30:31]
	v_add_f64 v[60:61], v[60:61], v[68:69]
	v_add_f64 v[40:41], v[70:71], v[40:41]
	;; [unrolled: 1-line block ×4, first 2 shown]
	v_mul_f64 v[50:51], v[26:27], s[16:17]
	v_fma_f64 v[48:49], v[22:23], s[26:27], -v[66:67]
	v_add_f64 v[20:21], v[58:59], v[20:21]
	v_mul_f64 v[58:59], v[26:27], s[22:23]
	v_mul_f64 v[26:27], v[26:27], s[18:19]
	v_fma_f64 v[68:69], v[22:23], s[6:7], -v[62:63]
	v_add_f64 v[16:17], v[64:65], v[16:17]
	v_fma_f64 v[62:63], v[22:23], s[6:7], v[62:63]
	v_fma_f64 v[34:35], v[22:23], s[0:1], -v[50:51]
	v_add_f64 v[48:49], v[48:49], v[56:57]
	v_fma_f64 v[50:51], v[22:23], s[0:1], v[50:51]
	v_mul_f64 v[56:57], v[14:15], s[38:39]
	v_fma_f64 v[64:65], v[22:23], s[26:27], v[66:67]
	v_fma_f64 v[66:67], v[22:23], s[10:11], -v[58:59]
	v_fma_f64 v[58:59], v[22:23], s[10:11], v[58:59]
	v_add_f64 v[30:31], v[30:31], v[38:39]
	v_fma_f64 v[38:39], v[22:23], s[12:13], -v[26:27]
	v_add_f64 v[34:35], v[34:35], v[36:37]
	v_mul_f64 v[36:37], v[14:15], s[42:43]
	v_fma_f64 v[22:23], v[22:23], s[12:13], v[26:27]
	v_add_f64 v[26:27], v[50:51], v[54:55]
	v_mul_f64 v[50:51], v[14:15], s[28:29]
	v_fma_f64 v[54:55], v[4:5], s[36:37], -v[56:57]
	v_fma_f64 v[56:57], v[4:5], s[36:37], v[56:57]
	v_add_f64 v[44:45], v[58:59], v[44:45]
	v_mul_f64 v[58:59], v[14:15], s[16:17]
	v_add_f64 v[28:29], v[68:69], v[28:29]
	v_add_f64 v[12:13], v[22:23], v[12:13]
	v_fma_f64 v[22:23], v[4:5], s[10:11], v[36:37]
	v_add_f64 v[52:53], v[62:63], v[52:53]
	v_add_f64 v[38:39], v[38:39], v[60:61]
	v_fma_f64 v[60:61], v[4:5], s[10:11], -v[36:37]
	v_fma_f64 v[36:37], v[4:5], s[24:25], -v[50:51]
	v_add_f64 v[20:21], v[56:57], v[20:21]
	v_fma_f64 v[50:51], v[4:5], s[24:25], v[50:51]
	v_mul_f64 v[56:57], v[14:15], s[30:31]
	v_add_f64 v[22:23], v[22:23], v[32:33]
	v_mul_f64 v[32:33], v[14:15], s[18:19]
	v_add_f64 v[16:17], v[54:55], v[16:17]
	v_fma_f64 v[54:55], v[4:5], s[0:1], -v[58:59]
	v_mul_f64 v[14:15], v[14:15], s[44:45]
	v_add_f64 v[40:41], v[66:67], v[40:41]
	v_add_f64 v[28:29], v[36:37], v[28:29]
	;; [unrolled: 1-line block ×3, first 2 shown]
	v_fma_f64 v[52:53], v[4:5], s[26:27], -v[56:57]
	v_add_f64 v[10:11], v[18:19], -v[10:11]
	v_fma_f64 v[18:19], v[4:5], s[12:13], -v[32:33]
	v_add_f64 v[48:49], v[54:55], v[48:49]
	v_fma_f64 v[54:55], v[4:5], s[26:27], v[56:57]
	v_fma_f64 v[56:57], v[4:5], s[6:7], -v[14:15]
	v_fma_f64 v[14:15], v[4:5], s[6:7], v[14:15]
	v_fma_f64 v[50:51], v[4:5], s[0:1], v[58:59]
	;; [unrolled: 1-line block ×3, first 2 shown]
	v_add_f64 v[24:25], v[64:65], v[24:25]
	v_add_f64 v[46:47], v[60:61], v[46:47]
	;; [unrolled: 1-line block ×10, first 2 shown]
	v_lshlrev_b32_e32 v14, 7, v122
	v_add3_u32 v14, v126, v14, v123
	ds_write2_b64 v14, v[8:9], v[16:17] offset1:1
	ds_write2_b64 v14, v[46:47], v[28:29] offset0:2 offset1:3
	ds_write2_b64 v14, v[48:49], v[32:33] offset0:4 offset1:5
	;; [unrolled: 1-line block ×7, first 2 shown]
	ds_write_b64 v14, v[20:21] offset:128
.LBB0_15:
	s_or_b64 exec, exec, s[2:3]
	s_movk_i32 s0, 0xf1
	v_mul_lo_u16_sdwa v4, v122, s0 dst_sel:DWORD dst_unused:UNUSED_PAD src0_sel:BYTE_0 src1_sel:DWORD
	v_lshrrev_b16_e32 v24, 12, v4
	v_mul_lo_u16_e32 v4, 17, v24
	v_sub_u16_e32 v25, v122, v4
	v_mov_b32_e32 v4, 10
	v_mul_u32_u24_sdwa v4, v25, v4 dst_sel:DWORD dst_unused:UNUSED_PAD src0_sel:BYTE_0 src1_sel:DWORD
	v_lshlrev_b32_e32 v4, 4, v4
	s_load_dwordx2 s[2:3], s[4:5], 0x0
	s_waitcnt lgkmcnt(0)
	s_barrier
	global_load_dwordx4 v[8:11], v4, s[8:9]
	global_load_dwordx4 v[12:15], v4, s[8:9] offset:16
	global_load_dwordx4 v[16:19], v4, s[8:9] offset:32
	;; [unrolled: 1-line block ×9, first 2 shown]
	ds_read_b64 v[4:5], v121
	ds_read2_b64 v[34:37], v120 offset0:102 offset1:204
	ds_read2_b64 v[44:47], v42 offset0:50 offset1:152
	;; [unrolled: 1-line block ×5, first 2 shown]
	s_mov_b32 s4, 0xf8bb580b
	s_mov_b32 s6, 0x8eee2c13
	;; [unrolled: 1-line block ×28, first 2 shown]
	s_movk_i32 s0, 0x5d8
	v_mad_u32_u24 v24, v24, s0, 0
	s_waitcnt vmcnt(0) lgkmcnt(0)
	s_barrier
	s_movk_i32 s0, 0x55
	v_cmp_gt_u32_e64 s[0:1], s0, v122
	v_mul_f64 v[42:43], v[34:35], v[10:11]
	v_mul_f64 v[10:11], v[86:87], v[10:11]
	;; [unrolled: 1-line block ×11, first 2 shown]
	v_fma_f64 v[62:63], v[86:87], v[8:9], v[42:43]
	v_mul_f64 v[118:119], v[82:83], v[58:59]
	v_fma_f64 v[64:65], v[34:35], v[8:9], -v[10:11]
	v_fma_f64 v[58:59], v[88:89], v[12:13], v[52:53]
	v_fma_f64 v[54:55], v[90:91], v[16:17], v[54:55]
	v_mul_f64 v[108:109], v[80:81], v[32:33]
	v_fma_f64 v[32:33], v[92:93], v[20:21], v[102:103]
	v_mul_f64 v[14:15], v[88:89], v[14:15]
	v_add_f64 v[8:9], v[0:1], v[62:63]
	v_mul_f64 v[22:23], v[92:93], v[22:23]
	v_mul_f64 v[28:29], v[78:79], v[28:29]
	;; [unrolled: 1-line block ×4, first 2 shown]
	v_fma_f64 v[50:51], v[44:45], v[16:17], -v[18:19]
	v_fma_f64 v[16:17], v[78:79], v[26:27], v[104:105]
	v_fma_f64 v[44:45], v[100:101], v[60:61], -v[126:127]
	v_add_f64 v[8:9], v[8:9], v[58:59]
	v_mul_f64 v[110:111], v[70:71], v[40:41]
	v_fma_f64 v[52:53], v[36:37], v[12:13], -v[14:15]
	v_fma_f64 v[36:37], v[46:47], v[20:21], -v[22:23]
	;; [unrolled: 1-line block ×3, first 2 shown]
	v_fma_f64 v[18:19], v[80:81], v[30:31], v[106:107]
	v_fma_f64 v[66:67], v[84:85], v[60:61], v[124:125]
	v_fma_f64 v[46:47], v[98:99], v[56:57], -v[118:119]
	v_add_f64 v[8:9], v[8:9], v[54:55]
	v_add_f64 v[10:11], v[64:65], -v[44:45]
	v_mul_f64 v[40:41], v[74:75], v[40:41]
	v_fma_f64 v[22:23], v[68:69], v[30:31], -v[108:109]
	v_fma_f64 v[34:35], v[74:75], v[38:39], v[110:111]
	v_fma_f64 v[60:61], v[82:83], v[56:57], v[116:117]
	;; [unrolled: 1-line block ×3, first 2 shown]
	v_fma_f64 v[48:49], v[72:73], v[48:49], -v[114:115]
	v_add_f64 v[8:9], v[8:9], v[32:33]
	v_add_f64 v[12:13], v[62:63], v[66:67]
	v_add_f64 v[26:27], v[52:53], -v[46:47]
	v_mul_f64 v[42:43], v[10:11], s[4:5]
	v_mul_f64 v[68:69], v[10:11], s[6:7]
	v_fma_f64 v[38:39], v[70:71], v[38:39], -v[40:41]
	v_add_f64 v[14:15], v[58:59], v[60:61]
	v_add_f64 v[30:31], v[50:51], -v[48:49]
	v_add_f64 v[8:9], v[8:9], v[16:17]
	v_mul_f64 v[70:71], v[10:11], s[10:11]
	v_mul_f64 v[72:73], v[10:11], s[18:19]
	;; [unrolled: 1-line block ×5, first 2 shown]
	v_fma_f64 v[90:91], v[12:13], s[12:13], v[42:43]
	v_fma_f64 v[42:43], v[12:13], s[12:13], -v[42:43]
	v_add_f64 v[8:9], v[8:9], v[18:19]
	v_fma_f64 v[92:93], v[12:13], s[16:17], v[68:69]
	v_fma_f64 v[68:69], v[12:13], s[16:17], -v[68:69]
	v_add_f64 v[28:29], v[54:55], v[56:57]
	v_mul_f64 v[78:79], v[26:27], s[36:37]
	v_mul_f64 v[80:81], v[26:27], s[28:29]
	;; [unrolled: 1-line block ×4, first 2 shown]
	v_add_f64 v[8:9], v[8:9], v[34:35]
	v_mul_f64 v[84:85], v[30:31], s[36:37]
	v_fma_f64 v[98:99], v[12:13], s[22:23], v[70:71]
	v_fma_f64 v[70:71], v[12:13], s[22:23], -v[70:71]
	v_fma_f64 v[100:101], v[12:13], s[24:25], v[72:73]
	v_fma_f64 v[72:73], v[12:13], s[24:25], -v[72:73]
	;; [unrolled: 2-line block ×5, first 2 shown]
	v_add_f64 v[90:91], v[0:1], v[90:91]
	v_add_f64 v[42:43], v[0:1], v[42:43]
	;; [unrolled: 1-line block ×5, first 2 shown]
	v_add_f64 v[40:41], v[36:37], -v[38:39]
	v_fma_f64 v[106:107], v[14:15], s[30:31], v[78:79]
	v_fma_f64 v[78:79], v[14:15], s[30:31], -v[78:79]
	v_fma_f64 v[108:109], v[14:15], s[22:23], v[80:81]
	v_fma_f64 v[80:81], v[14:15], s[22:23], -v[80:81]
	;; [unrolled: 2-line block ×3, first 2 shown]
	v_fma_f64 v[26:27], v[28:29], s[22:23], v[82:83]
	v_fma_f64 v[112:113], v[28:29], s[30:31], v[84:85]
	v_fma_f64 v[84:85], v[28:29], s[30:31], -v[84:85]
	v_add_f64 v[98:99], v[0:1], v[98:99]
	v_add_f64 v[70:71], v[0:1], v[70:71]
	;; [unrolled: 1-line block ×11, first 2 shown]
	v_mul_f64 v[86:87], v[30:31], s[38:39]
	v_mul_f64 v[88:89], v[30:31], s[4:5]
	v_fma_f64 v[82:83], v[28:29], s[22:23], -v[82:83]
	v_add_f64 v[72:73], v[80:81], v[72:73]
	v_add_f64 v[0:1], v[14:15], v[0:1]
	;; [unrolled: 1-line block ×6, first 2 shown]
	v_mul_f64 v[8:9], v[30:31], s[18:19]
	v_add_f64 v[68:69], v[32:33], v[34:35]
	v_mul_f64 v[80:81], v[40:41], s[18:19]
	v_add_f64 v[70:71], v[78:79], v[70:71]
	v_add_f64 v[76:77], v[108:109], v[100:101]
	;; [unrolled: 1-line block ×3, first 2 shown]
	v_fma_f64 v[30:31], v[28:29], s[16:17], -v[86:87]
	v_fma_f64 v[82:83], v[28:29], s[12:13], v[88:89]
	v_fma_f64 v[114:115], v[28:29], s[16:17], v[86:87]
	v_fma_f64 v[84:85], v[28:29], s[12:13], -v[88:89]
	v_fma_f64 v[88:89], v[28:29], s[24:25], v[8:9]
	v_fma_f64 v[8:9], v[28:29], s[24:25], -v[8:9]
	v_fma_f64 v[28:29], v[68:69], s[24:25], v[80:81]
	v_mul_f64 v[86:87], v[40:41], s[28:29]
	v_add_f64 v[30:31], v[30:31], v[70:71]
	v_add_f64 v[70:71], v[82:83], v[76:77]
	v_fma_f64 v[76:77], v[68:69], s[24:25], -v[80:81]
	v_add_f64 v[78:79], v[110:111], v[102:103]
	v_add_f64 v[74:75], v[106:107], v[98:99]
	;; [unrolled: 1-line block ×4, first 2 shown]
	v_mul_f64 v[10:11], v[40:41], s[26:27]
	v_add_f64 v[28:29], v[20:21], -v[22:23]
	v_fma_f64 v[80:81], v[68:69], s[22:23], v[86:87]
	v_mul_f64 v[82:83], v[40:41], s[4:5]
	v_add_f64 v[12:13], v[76:77], v[12:13]
	v_fma_f64 v[76:77], v[68:69], s[22:23], -v[86:87]
	v_mul_f64 v[40:41], v[40:41], s[38:39]
	v_add_f64 v[72:73], v[84:85], v[72:73]
	v_add_f64 v[78:79], v[88:89], v[78:79]
	v_fma_f64 v[84:85], v[68:69], s[30:31], v[10:11]
	v_add_f64 v[86:87], v[16:17], v[18:19]
	v_mul_f64 v[88:89], v[28:29], s[26:27]
	v_add_f64 v[74:75], v[114:115], v[74:75]
	v_add_f64 v[14:15], v[80:81], v[14:15]
	v_fma_f64 v[80:81], v[68:69], s[12:13], v[82:83]
	v_fma_f64 v[10:11], v[68:69], s[30:31], -v[10:11]
	v_add_f64 v[26:27], v[76:77], v[26:27]
	v_fma_f64 v[76:77], v[68:69], s[16:17], v[40:41]
	v_fma_f64 v[82:83], v[68:69], s[12:13], -v[82:83]
	v_fma_f64 v[40:41], v[68:69], s[16:17], -v[40:41]
	v_add_f64 v[68:69], v[84:85], v[70:71]
	v_fma_f64 v[70:71], v[86:87], s[30:31], v[88:89]
	v_add_f64 v[74:75], v[80:81], v[74:75]
	v_add_f64 v[10:11], v[10:11], v[72:73]
	v_fma_f64 v[72:73], v[86:87], s[30:31], -v[88:89]
	v_mul_f64 v[80:81], v[28:29], s[34:35]
	v_add_f64 v[76:77], v[76:77], v[78:79]
	v_mul_f64 v[78:79], v[28:29], s[18:19]
	v_add_f64 v[30:31], v[82:83], v[30:31]
	;; [unrolled: 2-line block ×4, first 2 shown]
	v_add_f64 v[0:1], v[72:73], v[12:13]
	v_fma_f64 v[12:13], v[86:87], s[12:13], v[80:81]
	v_fma_f64 v[28:29], v[86:87], s[12:13], -v[80:81]
	v_fma_f64 v[72:73], v[86:87], s[24:25], v[78:79]
	v_fma_f64 v[78:79], v[86:87], s[24:25], -v[78:79]
	v_fma_f64 v[80:81], v[86:87], s[16:17], v[82:83]
	v_fma_f64 v[84:85], v[86:87], s[22:23], v[8:9]
	v_fma_f64 v[82:83], v[86:87], s[16:17], -v[82:83]
	v_fma_f64 v[8:9], v[86:87], s[22:23], -v[8:9]
	v_add_f64 v[86:87], v[12:13], v[14:15]
	v_add_f64 v[14:15], v[28:29], v[26:27]
	;; [unrolled: 1-line block ×8, first 2 shown]
	v_mov_b32_e32 v40, 3
	v_lshlrev_b32_sdwa v25, v40, v25 dst_sel:DWORD dst_unused:UNUSED_PAD src0_sel:DWORD src1_sel:BYTE_0
	v_add3_u32 v68, v24, v25, v123
	ds_write2_b64 v68, v[42:43], v[70:71] offset1:17
	ds_write2_b64 v68, v[86:87], v[26:27] offset0:34 offset1:51
	ds_write2_b64 v68, v[28:29], v[30:31] offset0:68 offset1:85
	;; [unrolled: 1-line block ×4, first 2 shown]
	ds_write_b64 v68, v[0:1] offset:1360
	v_add_u32_e32 v69, 0x400, v120
	v_add_u32_e32 v70, 0x1000, v120
	s_waitcnt lgkmcnt(0)
	s_barrier
	ds_read2_b64 v[28:31], v69 offset0:59 offset1:246
	ds_read2_b64 v[24:27], v70 offset0:49 offset1:236
	ds_read_b64 v[40:41], v121
	ds_read_b64 v[42:43], v120 offset:7480
	s_and_saveexec_b64 s[40:41], s[0:1]
	s_cbranch_execz .LBB0_17
; %bb.16:
	v_add_u32_e32 v0, 0x200, v120
	ds_read2_b64 v[8:11], v0 offset0:38 offset1:225
	v_add_u32_e32 v0, 0xe00, v120
	ds_read2_b64 v[12:15], v0 offset0:28 offset1:215
	;; [unrolled: 2-line block ×3, first 2 shown]
.LBB0_17:
	s_or_b64 exec, exec, s[40:41]
	v_add_f64 v[71:72], v[4:5], v[64:65]
	v_add_f64 v[62:63], v[62:63], -v[66:67]
	v_add_f64 v[66:67], v[52:53], v[46:47]
	v_add_f64 v[58:59], v[58:59], -v[60:61]
	v_add_f64 v[60:61], v[50:51], v[48:49]
	v_add_f64 v[64:65], v[64:65], v[44:45]
	v_add_f64 v[54:55], v[54:55], -v[56:57]
	s_mov_b32 s41, 0x3fe82f19
	v_add_f64 v[52:53], v[71:72], v[52:53]
	s_mov_b32 s40, s18
	v_mul_f64 v[77:78], v[66:67], s[16:17]
	v_mul_f64 v[79:80], v[66:67], s[30:31]
	;; [unrolled: 1-line block ×6, first 2 shown]
	v_add_f64 v[50:51], v[52:53], v[50:51]
	v_mul_f64 v[52:53], v[66:67], s[24:25]
	v_mul_f64 v[75:76], v[64:65], s[24:25]
	v_mul_f64 v[64:65], v[64:65], s[30:31]
	v_mul_f64 v[81:82], v[66:67], s[22:23]
	v_fma_f64 v[91:92], v[62:63], s[38:39], v[71:72]
	v_fma_f64 v[71:72], v[62:63], s[6:7], v[71:72]
	;; [unrolled: 1-line block ×3, first 2 shown]
	v_add_f64 v[50:51], v[50:51], v[36:37]
	v_fma_f64 v[104:105], v[58:59], s[40:41], v[52:53]
	v_fma_f64 v[52:53], v[58:59], s[18:19], v[52:53]
	v_mul_f64 v[66:67], v[66:67], s[12:13]
	v_mul_f64 v[83:84], v[60:61], s[22:23]
	v_fma_f64 v[56:57], v[62:63], s[4:5], v[56:57]
	v_add_f64 v[71:72], v[4:5], v[71:72]
	v_fma_f64 v[98:99], v[62:63], s[28:29], v[73:74]
	v_add_f64 v[50:51], v[50:51], v[20:21]
	v_fma_f64 v[73:74], v[62:63], s[10:11], v[73:74]
	v_fma_f64 v[100:101], v[62:63], s[40:41], v[75:76]
	;; [unrolled: 1-line block ×6, first 2 shown]
	v_add_f64 v[89:90], v[4:5], v[89:90]
	v_add_f64 v[50:51], v[50:51], v[22:23]
	;; [unrolled: 1-line block ×4, first 2 shown]
	v_mul_f64 v[87:88], v[60:61], s[16:17]
	v_fma_f64 v[77:78], v[58:59], s[6:7], v[77:78]
	v_fma_f64 v[106:107], v[58:59], s[26:27], v[79:80]
	;; [unrolled: 1-line block ×4, first 2 shown]
	v_add_f64 v[50:51], v[50:51], v[38:39]
	v_fma_f64 v[81:82], v[58:59], s[28:29], v[81:82]
	v_fma_f64 v[110:111], v[58:59], s[4:5], v[66:67]
	;; [unrolled: 1-line block ×4, first 2 shown]
	v_add_f64 v[56:57], v[4:5], v[56:57]
	v_add_f64 v[91:92], v[4:5], v[91:92]
	;; [unrolled: 1-line block ×10, first 2 shown]
	v_mul_f64 v[38:39], v[60:61], s[12:13]
	v_add_f64 v[46:47], v[48:49], v[46:47]
	v_add_f64 v[32:33], v[32:33], -v[34:35]
	v_mul_f64 v[34:35], v[36:37], s[24:25]
	v_fma_f64 v[83:84], v[54:55], s[10:11], v[83:84]
	v_fma_f64 v[112:113], v[54:55], s[26:27], v[85:86]
	v_add_f64 v[56:57], v[77:78], v[56:57]
	v_add_f64 v[64:65], v[106:107], v[98:99]
	;; [unrolled: 1-line block ×4, first 2 shown]
	v_fma_f64 v[46:47], v[54:55], s[36:37], v[85:86]
	v_add_f64 v[73:74], v[81:82], v[75:76]
	v_add_f64 v[4:5], v[58:59], v[4:5]
	;; [unrolled: 1-line block ×3, first 2 shown]
	v_fma_f64 v[62:63], v[54:55], s[6:7], v[87:88]
	v_fma_f64 v[66:67], v[54:55], s[34:35], v[38:39]
	;; [unrolled: 1-line block ×3, first 2 shown]
	v_add_f64 v[50:51], v[79:80], v[50:51]
	v_add_f64 v[46:47], v[46:47], v[52:53]
	v_mul_f64 v[52:53], v[60:61], s[24:25]
	v_fma_f64 v[60:61], v[54:55], s[38:39], v[87:88]
	v_add_f64 v[56:57], v[83:84], v[56:57]
	v_add_f64 v[62:63], v[62:63], v[64:65]
	v_mul_f64 v[64:65], v[36:37], s[22:23]
	v_add_f64 v[38:39], v[38:39], v[73:74]
	v_mul_f64 v[73:74], v[36:37], s[12:13]
	v_add_f64 v[20:21], v[20:21], v[22:23]
	v_fma_f64 v[77:78], v[54:55], s[40:41], v[52:53]
	v_fma_f64 v[52:53], v[54:55], s[18:19], v[52:53]
	;; [unrolled: 1-line block ×4, first 2 shown]
	v_add_f64 v[48:49], v[104:105], v[91:92]
	v_add_f64 v[50:51], v[60:61], v[50:51]
	;; [unrolled: 1-line block ×3, first 2 shown]
	v_fma_f64 v[66:67], v[32:33], s[10:11], v[64:65]
	v_fma_f64 v[22:23], v[32:33], s[28:29], v[64:65]
	v_add_f64 v[4:5], v[52:53], v[4:5]
	v_add_f64 v[52:53], v[54:55], v[58:59]
	v_mul_f64 v[54:55], v[36:37], s[30:31]
	v_add_f64 v[34:35], v[34:35], v[56:57]
	v_fma_f64 v[56:57], v[32:33], s[34:35], v[73:74]
	v_mul_f64 v[36:37], v[36:37], s[16:17]
	v_fma_f64 v[58:59], v[32:33], s[4:5], v[73:74]
	v_add_f64 v[16:17], v[16:17], -v[18:19]
	v_mul_f64 v[18:19], v[20:21], s[30:31]
	v_add_f64 v[75:76], v[110:111], v[100:101]
	v_fma_f64 v[64:65], v[32:33], s[36:37], v[54:55]
	v_fma_f64 v[54:55], v[32:33], s[26:27], v[54:55]
	v_add_f64 v[48:49], v[112:113], v[48:49]
	v_add_f64 v[22:23], v[22:23], v[46:47]
	;; [unrolled: 1-line block ×3, first 2 shown]
	v_fma_f64 v[56:57], v[32:33], s[6:7], v[36:37]
	v_add_f64 v[50:51], v[58:59], v[50:51]
	v_fma_f64 v[32:33], v[32:33], s[38:39], v[36:37]
	v_add_f64 v[58:59], v[64:65], v[60:61]
	v_add_f64 v[36:37], v[54:55], v[38:39]
	v_fma_f64 v[38:39], v[16:17], s[36:37], v[18:19]
	v_fma_f64 v[18:19], v[16:17], s[26:27], v[18:19]
	v_mul_f64 v[54:55], v[20:21], s[12:13]
	v_mul_f64 v[60:61], v[20:21], s[24:25]
	v_add_f64 v[71:72], v[77:78], v[75:76]
	v_mul_f64 v[62:63], v[20:21], s[16:17]
	v_mul_f64 v[20:21], v[20:21], s[22:23]
	v_add_f64 v[48:49], v[66:67], v[48:49]
	v_add_f64 v[32:33], v[32:33], v[4:5]
	;; [unrolled: 1-line block ×4, first 2 shown]
	v_fma_f64 v[18:19], v[16:17], s[4:5], v[54:55]
	v_fma_f64 v[34:35], v[16:17], s[34:35], v[54:55]
	;; [unrolled: 1-line block ×3, first 2 shown]
	v_add_f64 v[56:57], v[56:57], v[71:72]
	v_fma_f64 v[54:55], v[16:17], s[6:7], v[62:63]
	v_fma_f64 v[62:63], v[16:17], s[38:39], v[62:63]
	;; [unrolled: 1-line block ×5, first 2 shown]
	v_add_f64 v[48:49], v[18:19], v[48:49]
	v_add_f64 v[22:23], v[34:35], v[22:23]
	;; [unrolled: 1-line block ×8, first 2 shown]
	s_waitcnt lgkmcnt(0)
	s_barrier
	ds_write2_b64 v68, v[44:45], v[38:39] offset1:17
	ds_write2_b64 v68, v[48:49], v[34:35] offset0:34 offset1:51
	ds_write2_b64 v68, v[46:47], v[36:37] offset0:68 offset1:85
	;; [unrolled: 1-line block ×4, first 2 shown]
	ds_write_b64 v68, v[4:5] offset:1360
	s_waitcnt lgkmcnt(0)
	s_barrier
	ds_read2_b64 v[32:35], v69 offset0:59 offset1:246
	ds_read2_b64 v[36:39], v70 offset0:49 offset1:236
	ds_read_b64 v[44:45], v121
	ds_read_b64 v[46:47], v120 offset:7480
	s_and_saveexec_b64 s[4:5], s[0:1]
	s_cbranch_execz .LBB0_19
; %bb.18:
	v_add_u32_e32 v4, 0x200, v120
	ds_read2_b64 v[16:19], v4 offset0:38 offset1:225
	v_add_u32_e32 v4, 0xe00, v120
	ds_read2_b64 v[20:23], v4 offset0:28 offset1:215
	;; [unrolled: 2-line block ×3, first 2 shown]
.LBB0_19:
	s_or_b64 exec, exec, s[4:5]
	s_and_saveexec_b64 s[4:5], vcc
	s_cbranch_execz .LBB0_22
; %bb.20:
	v_mul_u32_u24_e32 v48, 5, v122
	v_lshlrev_b32_e32 v48, 4, v48
	global_load_dwordx4 v[50:53], v48, s[8:9] offset:2736
	global_load_dwordx4 v[54:57], v48, s[8:9] offset:2768
	;; [unrolled: 1-line block ×5, first 2 shown]
	v_add_u32_e32 v84, 0xbb, v122
	v_mul_lo_u32 v82, s3, v96
	v_mul_lo_u32 v83, s2, v97
	v_mad_u64_u32 v[48:49], s[2:3], s2, v96, 0
	v_mad_u64_u32 v[70:71], s[6:7], s20, v122, 0
	v_add_u32_e32 v85, 0x176, v122
	v_mad_u64_u32 v[74:75], s[6:7], s20, v84, 0
	v_add_u32_e32 v86, 0x231, v122
	v_mad_u64_u32 v[76:77], s[6:7], s20, v85, 0
	v_lshlrev_b64 v[72:73], 4, v[94:95]
	v_mad_u64_u32 v[78:79], s[6:7], s20, v86, 0
	v_add3_u32 v49, v49, v83, v82
	v_mad_u64_u32 v[82:83], s[6:7], s21, v122, v[71:72]
	v_mov_b32_e32 v71, v75
	v_mov_b32_e32 v75, v77
	v_mad_u64_u32 v[83:84], s[6:7], s21, v84, v[71:72]
	v_mov_b32_e32 v77, v79
	v_mad_u64_u32 v[84:85], s[6:7], s21, v85, v[75:76]
	v_mad_u64_u32 v[85:86], s[6:7], s21, v86, v[77:78]
	v_lshlrev_b64 v[48:49], 4, v[48:49]
	v_mov_b32_e32 v87, s15
	v_add_co_u32_e32 v48, vcc, s14, v48
	v_addc_co_u32_e32 v49, vcc, v87, v49, vcc
	v_mov_b32_e32 v77, v84
	v_mov_b32_e32 v79, v85
	v_add_co_u32_e32 v48, vcc, v48, v72
	v_mov_b32_e32 v75, v83
	v_addc_co_u32_e32 v49, vcc, v49, v73, vcc
	v_mov_b32_e32 v71, v82
	v_lshlrev_b64 v[72:73], 4, v[74:75]
	v_lshlrev_b64 v[74:75], 4, v[76:77]
	;; [unrolled: 1-line block ×3, first 2 shown]
	s_mov_b32 s2, 0xe8584caa
	s_mov_b32 s3, 0xbfebb67a
	;; [unrolled: 1-line block ×4, first 2 shown]
	v_lshlrev_b64 v[70:71], 4, v[70:71]
	v_add_u32_e32 v90, 0x2ec, v122
	v_add_co_u32_e32 v70, vcc, v48, v70
	v_mad_u64_u32 v[80:81], s[6:7], s20, v90, 0
	v_addc_co_u32_e32 v71, vcc, v49, v71, vcc
	s_waitcnt vmcnt(4)
	v_mul_f64 v[78:79], v[30:31], v[52:53]
	s_waitcnt vmcnt(3)
	v_mul_f64 v[82:83], v[26:27], v[56:57]
	;; [unrolled: 2-line block ×4, first 2 shown]
	s_waitcnt lgkmcnt(2)
	v_mul_f64 v[56:57], v[38:39], v[56:57]
	s_waitcnt vmcnt(0)
	v_mul_f64 v[88:89], v[28:29], v[66:67]
	v_mul_f64 v[60:61], v[36:37], v[60:61]
	s_waitcnt lgkmcnt(0)
	v_mul_f64 v[64:65], v[46:47], v[64:65]
	v_mul_f64 v[28:29], v[28:29], v[68:69]
	;; [unrolled: 1-line block ×3, first 2 shown]
	v_fma_f64 v[36:37], v[36:37], v[58:59], -v[84:85]
	v_fma_f64 v[46:47], v[46:47], v[62:63], -v[86:87]
	;; [unrolled: 1-line block ×4, first 2 shown]
	v_fma_f64 v[26:27], v[26:27], v[54:55], v[56:57]
	v_fma_f64 v[24:25], v[24:25], v[58:59], v[60:61]
	;; [unrolled: 1-line block ×3, first 2 shown]
	v_fma_f64 v[28:29], v[32:33], v[66:67], -v[28:29]
	v_fma_f64 v[30:31], v[30:31], v[50:51], v[52:53]
	v_add_f64 v[56:57], v[36:37], v[46:47]
	v_fma_f64 v[52:53], v[32:33], v[68:69], v[88:89]
	v_add_f64 v[32:33], v[34:35], v[38:39]
	v_add_f64 v[58:59], v[36:37], -v[46:47]
	v_add_f64 v[64:65], v[44:45], v[34:35]
	v_add_f64 v[60:61], v[24:25], v[42:43]
	v_add_f64 v[62:63], v[24:25], -v[42:43]
	v_add_f64 v[36:37], v[36:37], v[28:29]
	v_fma_f64 v[28:29], v[56:57], -0.5, v[28:29]
	v_add_f64 v[54:55], v[30:31], -v[26:27]
	v_add_f64 v[66:67], v[30:31], v[26:27]
	v_add_f64 v[30:31], v[40:41], v[30:31]
	v_fma_f64 v[32:33], v[32:33], -0.5, v[44:45]
	v_fma_f64 v[44:45], v[60:61], -0.5, v[52:53]
	v_add_f64 v[34:35], v[34:35], -v[38:39]
	v_add_f64 v[36:37], v[46:47], v[36:37]
	v_fma_f64 v[46:47], v[62:63], s[2:3], v[28:29]
	v_fma_f64 v[28:29], v[62:63], s[4:5], v[28:29]
	v_add_f64 v[24:25], v[24:25], v[52:53]
	v_fma_f64 v[40:41], v[66:67], -0.5, v[40:41]
	v_add_f64 v[52:53], v[30:31], v[26:27]
	v_fma_f64 v[56:57], v[54:55], s[2:3], v[32:33]
	v_fma_f64 v[30:31], v[58:59], s[4:5], v[44:45]
	;; [unrolled: 1-line block ×4, first 2 shown]
	v_mul_f64 v[58:59], v[28:29], 0.5
	v_mul_f64 v[28:29], v[28:29], s[2:3]
	v_mul_f64 v[44:45], v[46:47], -0.5
	v_mul_f64 v[46:47], v[46:47], s[2:3]
	v_add_f64 v[38:39], v[64:65], v[38:39]
	v_add_f64 v[42:43], v[42:43], v[24:25]
	v_fma_f64 v[60:61], v[34:35], s[4:5], v[40:41]
	v_fma_f64 v[40:41], v[34:35], s[2:3], v[40:41]
	;; [unrolled: 1-line block ×3, first 2 shown]
	v_fma_f64 v[62:63], v[32:33], 0.5, v[28:29]
	v_fma_f64 v[44:45], v[30:31], s[4:5], v[44:45]
	v_fma_f64 v[46:47], v[30:31], -0.5, v[46:47]
	v_add_f64 v[26:27], v[38:39], v[36:37]
	v_add_f64 v[24:25], v[52:53], v[42:43]
	v_add_f64 v[30:31], v[38:39], -v[36:37]
	v_add_co_u32_e32 v50, vcc, v48, v72
	v_add_f64 v[38:39], v[54:55], v[58:59]
	v_add_f64 v[36:37], v[40:41], v[62:63]
	;; [unrolled: 1-line block ×4, first 2 shown]
	v_addc_co_u32_e32 v51, vcc, v49, v73, vcc
	v_add_f64 v[28:29], v[52:53], -v[42:43]
	v_add_co_u32_e32 v64, vcc, v48, v74
	v_addc_co_u32_e32 v65, vcc, v49, v75, vcc
	global_store_dwordx4 v[70:71], v[24:27], off
	global_store_dwordx4 v[50:51], v[36:39], off
	global_store_dwordx4 v[64:65], v[32:35], off
	v_add_u32_e32 v37, 0x3a7, v122
	v_mov_b32_e32 v34, v81
	v_mad_u64_u32 v[34:35], s[6:7], s21, v90, v[34:35]
	v_mad_u64_u32 v[35:36], s[6:7], s20, v37, 0
	v_add_f64 v[42:43], v[54:55], -v[58:59]
	v_add_f64 v[40:41], v[40:41], -v[62:63]
	v_add_co_u32_e32 v32, vcc, v48, v76
	v_addc_co_u32_e32 v33, vcc, v49, v77, vcc
	global_store_dwordx4 v[32:33], v[28:31], off
	v_mov_b32_e32 v81, v34
	v_mov_b32_e32 v30, v36
	v_mad_u64_u32 v[30:31], s[6:7], s21, v37, v[30:31]
	v_add_f64 v[26:27], v[56:57], -v[44:45]
	v_add_f64 v[24:25], v[60:61], -v[46:47]
	v_lshlrev_b64 v[28:29], 4, v[80:81]
	v_mov_b32_e32 v36, v30
	v_add_co_u32_e32 v28, vcc, v48, v28
	v_addc_co_u32_e32 v29, vcc, v49, v29, vcc
	global_store_dwordx4 v[28:29], v[40:43], off
	v_lshlrev_b64 v[28:29], 4, v[35:36]
	v_add_co_u32_e32 v28, vcc, v48, v28
	v_addc_co_u32_e32 v29, vcc, v49, v29, vcc
	global_store_dwordx4 v[28:29], v[24:27], off
	s_and_b64 exec, exec, s[0:1]
	s_cbranch_execz .LBB0_22
; %bb.21:
	v_add_u32_e32 v58, 0x66, v122
	v_add_u32_e32 v24, 0xffffffab, v122
	v_cndmask_b32_e64 v24, v24, v58, s[0:1]
	v_mul_i32_i24_e32 v24, 5, v24
	v_mov_b32_e32 v25, 0
	v_lshlrev_b64 v[24:25], 4, v[24:25]
	v_mov_b32_e32 v26, s9
	v_add_co_u32_e32 v44, vcc, s8, v24
	v_addc_co_u32_e32 v45, vcc, v26, v25, vcc
	global_load_dwordx4 v[24:27], v[44:45], off offset:2720
	global_load_dwordx4 v[28:31], v[44:45], off offset:2736
	;; [unrolled: 1-line block ×5, first 2 shown]
	v_add_u32_e32 v60, 0x121, v122
	v_mad_u64_u32 v[44:45], s[0:1], s20, v58, 0
	v_mad_u64_u32 v[46:47], s[0:1], s20, v60, 0
	v_add_u32_e32 v61, 0x1dc, v122
	v_add_u32_e32 v62, 0x297, v122
	;; [unrolled: 1-line block ×3, first 2 shown]
	v_mad_u64_u32 v[50:51], s[0:1], s20, v61, 0
	v_mad_u64_u32 v[52:53], s[0:1], s20, v62, 0
	v_add_u32_e32 v64, 0x40d, v122
	v_mad_u64_u32 v[54:55], s[0:1], s20, v63, 0
	v_mad_u64_u32 v[56:57], s[0:1], s20, v64, 0
	;; [unrolled: 1-line block ×7, first 2 shown]
	v_mov_b32_e32 v53, v61
	v_mad_u64_u32 v[63:64], s[0:1], s21, v64, v[57:58]
	v_mov_b32_e32 v55, v62
	v_mov_b32_e32 v45, v58
	;; [unrolled: 1-line block ×4, first 2 shown]
	v_lshlrev_b64 v[44:45], 4, v[44:45]
	v_lshlrev_b64 v[46:47], 4, v[46:47]
	v_add_co_u32_e32 v44, vcc, v48, v44
	v_addc_co_u32_e32 v45, vcc, v49, v45, vcc
	v_lshlrev_b64 v[50:51], 4, v[50:51]
	v_add_co_u32_e32 v46, vcc, v48, v46
	v_addc_co_u32_e32 v47, vcc, v49, v47, vcc
	;; [unrolled: 3-line block ×3, first 2 shown]
	v_lshlrev_b64 v[54:55], 4, v[54:55]
	s_waitcnt vmcnt(4)
	v_mul_f64 v[57:58], v[18:19], v[26:27]
	v_mul_f64 v[26:27], v[10:11], v[26:27]
	s_waitcnt vmcnt(2)
	v_mul_f64 v[61:62], v[14:15], v[34:35]
	v_mul_f64 v[59:60], v[20:21], v[30:31]
	;; [unrolled: 3-line block ×3, first 2 shown]
	v_mul_f64 v[34:35], v[22:23], v[34:35]
	v_mul_f64 v[42:43], v[6:7], v[42:43]
	;; [unrolled: 1-line block ×4, first 2 shown]
	v_fma_f64 v[22:23], v[22:23], v[32:33], -v[61:62]
	v_fma_f64 v[12:13], v[12:13], v[28:29], v[59:60]
	v_fma_f64 v[6:7], v[6:7], v[40:41], -v[66:67]
	v_fma_f64 v[20:21], v[20:21], v[28:29], -v[30:31]
	v_fma_f64 v[10:11], v[10:11], v[24:25], v[57:58]
	v_fma_f64 v[18:19], v[18:19], v[24:25], -v[26:27]
	v_fma_f64 v[14:15], v[14:15], v[32:33], v[34:35]
	v_fma_f64 v[2:3], v[2:3], v[40:41], v[42:43]
	;; [unrolled: 1-line block ×3, first 2 shown]
	v_fma_f64 v[4:5], v[4:5], v[36:37], -v[38:39]
	v_add_f64 v[28:29], v[22:23], v[6:7]
	v_add_f64 v[24:25], v[8:9], v[12:13]
	;; [unrolled: 1-line block ×3, first 2 shown]
	v_add_f64 v[38:39], v[22:23], -v[6:7]
	v_add_f64 v[34:35], v[10:11], v[14:15]
	v_add_f64 v[36:37], v[14:15], v[2:3]
	v_add_f64 v[14:15], v[14:15], -v[2:3]
	v_add_f64 v[26:27], v[12:13], v[0:1]
	v_fma_f64 v[28:29], v[28:29], -0.5, v[18:19]
	v_add_f64 v[30:31], v[20:21], -v[4:5]
	v_add_f64 v[20:21], v[20:21], v[4:5]
	v_add_f64 v[18:19], v[18:19], v[22:23]
	;; [unrolled: 1-line block ×4, first 2 shown]
	v_fma_f64 v[4:5], v[36:37], -0.5, v[10:11]
	v_add_f64 v[12:13], v[12:13], -v[0:1]
	v_fma_f64 v[10:11], v[14:15], s[4:5], v[28:29]
	v_fma_f64 v[0:1], v[26:27], -0.5, v[8:9]
	v_fma_f64 v[14:15], v[14:15], s[2:3], v[28:29]
	v_fma_f64 v[8:9], v[20:21], -0.5, v[16:17]
	v_add_f64 v[6:7], v[18:19], v[6:7]
	v_add_f64 v[16:17], v[34:35], v[2:3]
	v_fma_f64 v[26:27], v[38:39], s[2:3], v[4:5]
	v_fma_f64 v[4:5], v[38:39], s[4:5], v[4:5]
	v_mul_f64 v[28:29], v[10:11], s[2:3]
	v_mul_f64 v[10:11], v[10:11], 0.5
	v_fma_f64 v[18:19], v[30:31], s[2:3], v[0:1]
	v_fma_f64 v[20:21], v[30:31], s[4:5], v[0:1]
	v_mul_f64 v[30:31], v[14:15], s[2:3]
	v_mul_f64 v[14:15], v[14:15], -0.5
	v_fma_f64 v[32:33], v[12:13], s[4:5], v[8:9]
	v_fma_f64 v[34:35], v[12:13], s[2:3], v[8:9]
	v_fma_f64 v[28:29], v[26:27], 0.5, v[28:29]
	v_fma_f64 v[26:27], v[26:27], s[4:5], v[10:11]
	v_add_f64 v[0:1], v[22:23], v[16:17]
	v_add_f64 v[2:3], v[24:25], v[6:7]
	v_fma_f64 v[30:31], v[4:5], -0.5, v[30:31]
	v_fma_f64 v[36:37], v[4:5], s[4:5], v[14:15]
	v_add_f64 v[4:5], v[22:23], -v[16:17]
	v_add_f64 v[6:7], v[24:25], -v[6:7]
	v_add_f64 v[8:9], v[18:19], v[28:29]
	v_add_f64 v[10:11], v[32:33], v[26:27]
	v_add_co_u32_e32 v38, vcc, v48, v52
	v_add_f64 v[12:13], v[20:21], v[30:31]
	v_add_f64 v[14:15], v[34:35], v[36:37]
	global_store_dwordx4 v[44:45], v[0:3], off
	v_add_f64 v[16:17], v[20:21], -v[30:31]
	v_add_f64 v[0:1], v[18:19], -v[28:29]
	v_add_f64 v[2:3], v[32:33], -v[26:27]
	v_add_f64 v[18:19], v[34:35], -v[36:37]
	v_addc_co_u32_e32 v39, vcc, v49, v53, vcc
	global_store_dwordx4 v[46:47], v[8:11], off
	global_store_dwordx4 v[50:51], v[12:15], off
	;; [unrolled: 1-line block ×3, first 2 shown]
	v_mov_b32_e32 v57, v63
	v_add_co_u32_e32 v4, vcc, v48, v54
	v_addc_co_u32_e32 v5, vcc, v49, v55, vcc
	global_store_dwordx4 v[4:5], v[0:3], off
	s_nop 0
	v_lshlrev_b64 v[0:1], 4, v[56:57]
	v_add_co_u32_e32 v0, vcc, v48, v0
	v_addc_co_u32_e32 v1, vcc, v49, v1, vcc
	global_store_dwordx4 v[0:1], v[16:19], off
.LBB0_22:
	s_endpgm
	.section	.rodata,"a",@progbits
	.p2align	6, 0x0
	.amdhsa_kernel fft_rtc_back_len1122_factors_17_11_6_wgs_204_tpt_102_halfLds_dp_op_CI_CI_sbrr_dirReg
		.amdhsa_group_segment_fixed_size 0
		.amdhsa_private_segment_fixed_size 0
		.amdhsa_kernarg_size 104
		.amdhsa_user_sgpr_count 6
		.amdhsa_user_sgpr_private_segment_buffer 1
		.amdhsa_user_sgpr_dispatch_ptr 0
		.amdhsa_user_sgpr_queue_ptr 0
		.amdhsa_user_sgpr_kernarg_segment_ptr 1
		.amdhsa_user_sgpr_dispatch_id 0
		.amdhsa_user_sgpr_flat_scratch_init 0
		.amdhsa_user_sgpr_private_segment_size 0
		.amdhsa_uses_dynamic_stack 0
		.amdhsa_system_sgpr_private_segment_wavefront_offset 0
		.amdhsa_system_sgpr_workgroup_id_x 1
		.amdhsa_system_sgpr_workgroup_id_y 0
		.amdhsa_system_sgpr_workgroup_id_z 0
		.amdhsa_system_sgpr_workgroup_info 0
		.amdhsa_system_vgpr_workitem_id 0
		.amdhsa_next_free_vgpr 159
		.amdhsa_next_free_sgpr 62
		.amdhsa_reserve_vcc 1
		.amdhsa_reserve_flat_scratch 0
		.amdhsa_float_round_mode_32 0
		.amdhsa_float_round_mode_16_64 0
		.amdhsa_float_denorm_mode_32 3
		.amdhsa_float_denorm_mode_16_64 3
		.amdhsa_dx10_clamp 1
		.amdhsa_ieee_mode 1
		.amdhsa_fp16_overflow 0
		.amdhsa_exception_fp_ieee_invalid_op 0
		.amdhsa_exception_fp_denorm_src 0
		.amdhsa_exception_fp_ieee_div_zero 0
		.amdhsa_exception_fp_ieee_overflow 0
		.amdhsa_exception_fp_ieee_underflow 0
		.amdhsa_exception_fp_ieee_inexact 0
		.amdhsa_exception_int_div_zero 0
	.end_amdhsa_kernel
	.text
.Lfunc_end0:
	.size	fft_rtc_back_len1122_factors_17_11_6_wgs_204_tpt_102_halfLds_dp_op_CI_CI_sbrr_dirReg, .Lfunc_end0-fft_rtc_back_len1122_factors_17_11_6_wgs_204_tpt_102_halfLds_dp_op_CI_CI_sbrr_dirReg
                                        ; -- End function
	.section	.AMDGPU.csdata,"",@progbits
; Kernel info:
; codeLenInByte = 14580
; NumSgprs: 66
; NumVgprs: 159
; ScratchSize: 0
; MemoryBound: 1
; FloatMode: 240
; IeeeMode: 1
; LDSByteSize: 0 bytes/workgroup (compile time only)
; SGPRBlocks: 8
; VGPRBlocks: 39
; NumSGPRsForWavesPerEU: 66
; NumVGPRsForWavesPerEU: 159
; Occupancy: 1
; WaveLimiterHint : 1
; COMPUTE_PGM_RSRC2:SCRATCH_EN: 0
; COMPUTE_PGM_RSRC2:USER_SGPR: 6
; COMPUTE_PGM_RSRC2:TRAP_HANDLER: 0
; COMPUTE_PGM_RSRC2:TGID_X_EN: 1
; COMPUTE_PGM_RSRC2:TGID_Y_EN: 0
; COMPUTE_PGM_RSRC2:TGID_Z_EN: 0
; COMPUTE_PGM_RSRC2:TIDIG_COMP_CNT: 0
	.type	__hip_cuid_23c45b1573d07fb6,@object ; @__hip_cuid_23c45b1573d07fb6
	.section	.bss,"aw",@nobits
	.globl	__hip_cuid_23c45b1573d07fb6
__hip_cuid_23c45b1573d07fb6:
	.byte	0                               ; 0x0
	.size	__hip_cuid_23c45b1573d07fb6, 1

	.ident	"AMD clang version 19.0.0git (https://github.com/RadeonOpenCompute/llvm-project roc-6.4.0 25133 c7fe45cf4b819c5991fe208aaa96edf142730f1d)"
	.section	".note.GNU-stack","",@progbits
	.addrsig
	.addrsig_sym __hip_cuid_23c45b1573d07fb6
	.amdgpu_metadata
---
amdhsa.kernels:
  - .args:
      - .actual_access:  read_only
        .address_space:  global
        .offset:         0
        .size:           8
        .value_kind:     global_buffer
      - .offset:         8
        .size:           8
        .value_kind:     by_value
      - .actual_access:  read_only
        .address_space:  global
        .offset:         16
        .size:           8
        .value_kind:     global_buffer
      - .actual_access:  read_only
        .address_space:  global
        .offset:         24
        .size:           8
        .value_kind:     global_buffer
      - .actual_access:  read_only
        .address_space:  global
        .offset:         32
        .size:           8
        .value_kind:     global_buffer
      - .offset:         40
        .size:           8
        .value_kind:     by_value
      - .actual_access:  read_only
        .address_space:  global
        .offset:         48
        .size:           8
        .value_kind:     global_buffer
      - .actual_access:  read_only
        .address_space:  global
        .offset:         56
        .size:           8
        .value_kind:     global_buffer
      - .offset:         64
        .size:           4
        .value_kind:     by_value
      - .actual_access:  read_only
        .address_space:  global
        .offset:         72
        .size:           8
        .value_kind:     global_buffer
      - .actual_access:  read_only
        .address_space:  global
        .offset:         80
        .size:           8
        .value_kind:     global_buffer
      - .actual_access:  read_only
        .address_space:  global
        .offset:         88
        .size:           8
        .value_kind:     global_buffer
      - .actual_access:  write_only
        .address_space:  global
        .offset:         96
        .size:           8
        .value_kind:     global_buffer
    .group_segment_fixed_size: 0
    .kernarg_segment_align: 8
    .kernarg_segment_size: 104
    .language:       OpenCL C
    .language_version:
      - 2
      - 0
    .max_flat_workgroup_size: 204
    .name:           fft_rtc_back_len1122_factors_17_11_6_wgs_204_tpt_102_halfLds_dp_op_CI_CI_sbrr_dirReg
    .private_segment_fixed_size: 0
    .sgpr_count:     66
    .sgpr_spill_count: 0
    .symbol:         fft_rtc_back_len1122_factors_17_11_6_wgs_204_tpt_102_halfLds_dp_op_CI_CI_sbrr_dirReg.kd
    .uniform_work_group_size: 1
    .uses_dynamic_stack: false
    .vgpr_count:     159
    .vgpr_spill_count: 0
    .wavefront_size: 64
amdhsa.target:   amdgcn-amd-amdhsa--gfx906
amdhsa.version:
  - 1
  - 2
...

	.end_amdgpu_metadata
